;; amdgpu-corpus repo=ROCm/aiter kind=harvested arch=n/a opt=n/a

/root/src/amdgpu-assembly/repos/ROCm__aiter/hsa/gfx950/fmoe/silu/fmoe_fp16_pertokenFp8_g1u1_vs_multix_silu_1tg_ps_32x320.co:	file format elf64-amdgpu

Disassembly of section .text:

0000000000002e00 <_ZN5aiter55fmoe_fp16_pertokenFp8_g1u1_vs_multix_silu_1tg_ps_32x320E>:
	v_lshrrev_b32_e32 v1, 10, v0                               // 000000002E00: 2002008A
	v_lshrrev_b32_e32 v2, 10, v1                               // 000000002E04: 2004028A
	v_and_b32_e32 v2, 0x3ff, v2                                // 000000002E08: 260404FF 000003FF
	v_and_b32_e32 v1, 0x3ff, v1                                // 000000002E10: 260202FF 000003FF
	v_and_b32_e32 v0, 0x3ff, v0                                // 000000002E18: 260000FF 000003FF
	v_lshrrev_b32_e32 v3, 6, v0                                // 000000002E20: 20060086
	v_and_b32_e32 v0, 63, v0                                   // 000000002E24: 260000BF
	s_mov_b32 s2, s2                                           // 000000002E28: BE820002
	s_mov_b32 s3, s3                                           // 000000002E2C: BE830003
	s_mov_b32 s4, s4                                           // 000000002E30: BE840004
	s_mov_b32 s99, s2                                          // 000000002E34: BEE30002
	v_readfirstlane_b32 s7, v3                                 // 000000002E38: 7E0E0503
	s_and_b32 s1, s1, 0xffff                                   // 000000002E3C: 8601FF01 0000FFFF
	s_mov_b32 s96, 0                                           // 000000002E44: BEE00080
	s_mov_b32 s97, 0                                           // 000000002E48: BEE10080
	s_mov_b32 s100, 0                                          // 000000002E4C: BEE40080
	s_load_dword s96, s[0:1], 0x1a0                            // 000000002E50: C0021800 000001A0
	s_load_dword s97, s[0:1], 0x1b0                            // 000000002E58: C0021840 000001B0
	s_waitcnt lgkmcnt(0)                                       // 000000002E60: BF8CC07F
	s_cmp_eq_u32 s96, 0                                        // 000000002E64: BF068060
	s_cbranch_scc1 label_005C                                  // 000000002E68: BF850041
	v_cvt_f32_u32_e32 v50, s97                                 // 000000002E6C: 7E640C61
	s_sub_i32 s60, 0, s97                                      // 000000002E70: 81BC6180
	v_rcp_iflag_f32_e32 v50, v50                               // 000000002E74: 7E644732
	s_nop 0                                                    // 000000002E78: BF800000
	v_mul_f32_e32 v50, 0x4f7ffffe, v50                         // 000000002E7C: 0A6464FF 4F7FFFFE
	v_cvt_u32_f32_e32 v50, v50                                 // 000000002E84: 7E640F32
	v_mul_lo_u32 v51, s60, v50                                 // 000000002E88: D2850033 0002643C
	v_mul_hi_u32 v51, v50, v51                                 // 000000002E90: D2860033 00026732
	v_add_u32_e32 v50, v50, v51                                // 000000002E98: 68646732
	v_mul_hi_u32 v50, s96, v50                                 // 000000002E9C: D2860032 00026460
	v_mul_lo_u32 v51, v50, s97                                 // 000000002EA4: D2850033 0000C332
	v_sub_u32_e32 v53, s96, v51                                // 000000002EAC: 6A6A6660
	v_add_u32_e32 v52, 1, v50                                  // 000000002EB0: 68686481
	v_cmp_le_u32_e32 vcc, s97, v53                             // 000000002EB4: 7D966A61
	v_subrev_u32_e32 v51, s97, v53                             // 000000002EB8: 6C666A61
	s_nop 0                                                    // 000000002EBC: BF800000
	v_cndmask_b32_e32 v50, v50, v52, vcc                       // 000000002EC0: 00646932
	v_cndmask_b32_e32 v53, v53, v51, vcc                       // 000000002EC4: 006A6735
	v_add_u32_e32 v51, 1, v50                                  // 000000002EC8: 68666481
	v_cmp_le_u32_e32 vcc, s97, v53                             // 000000002ECC: 7D966A61
	s_nop 1                                                    // 000000002ED0: BF800001
	v_cndmask_b32_e32 v53, v50, v51, vcc                       // 000000002ED4: 006A6732
	s_nop 3                                                    // 000000002ED8: BF800003
	v_readfirstlane_b32 s98, v53                               // 000000002EDC: 7EC40535
	s_nop 3                                                    // 000000002EE0: BF800003

0000000000002ee4 <label_0039>:
	s_mov_b32 s4, 0                                            // 000000002EE4: BE840080
	v_cvt_f32_u32_e32 v50, s97                                 // 000000002EE8: 7E640C61
	s_sub_i32 s60, 0, s97                                      // 000000002EEC: 81BC6180
	v_rcp_iflag_f32_e32 v50, v50                               // 000000002EF0: 7E644732
	s_nop 0                                                    // 000000002EF4: BF800000
	v_mul_f32_e32 v50, 0x4f7ffffe, v50                         // 000000002EF8: 0A6464FF 4F7FFFFE
	v_cvt_u32_f32_e32 v50, v50                                 // 000000002F00: 7E640F32
	v_mul_lo_u32 v51, s60, v50                                 // 000000002F04: D2850033 0002643C
	v_mul_hi_u32 v51, v50, v51                                 // 000000002F0C: D2860033 00026732
	v_add_u32_e32 v50, v50, v51                                // 000000002F14: 68646732
	v_mul_hi_u32 v50, s99, v50                                 // 000000002F18: D2860032 00026463
	v_mul_lo_u32 v51, v50, s97                                 // 000000002F20: D2850033 0000C332
	v_sub_u32_e32 v53, s99, v51                                // 000000002F28: 6A6A6663
	v_add_u32_e32 v52, 1, v50                                  // 000000002F2C: 68686481
	v_cmp_le_u32_e32 vcc, s97, v53                             // 000000002F30: 7D966A61
	v_subrev_u32_e32 v51, s97, v53                             // 000000002F34: 6C666A61
	s_nop 0                                                    // 000000002F38: BF800000
	v_cndmask_b32_e32 v50, v50, v52, vcc                       // 000000002F3C: 00646932
	v_cndmask_b32_e32 v53, v53, v51, vcc                       // 000000002F40: 006A6735
	v_add_u32_e32 v51, 1, v50                                  // 000000002F44: 68666481
	v_cmp_le_u32_e32 vcc, s97, v53                             // 000000002F48: 7D966A61
	s_nop 1                                                    // 000000002F4C: BF800001
	v_cndmask_b32_e32 v53, v50, v51, vcc                       // 000000002F50: 006A6732
	s_nop 3                                                    // 000000002F54: BF800003
	v_readfirstlane_b32 s3, v53                                // 000000002F58: 7E060535
	s_nop 3                                                    // 000000002F5C: BF800003
	s_mul_i32 s60, s3, s97                                     // 000000002F60: 923C6103
	s_sub_u32 s2, s99, s60                                     // 000000002F64: 80823C63
	s_mul_i32 s60, s98, s100                                   // 000000002F68: 923C6462
	s_add_i32 s3, s3, s60                                      // 000000002F6C: 81033C03

0000000000002f70 <label_005C>:
	s_and_b32 s1, s1, 0xffff                                   // 000000002F70: 8601FF01 0000FFFF
	s_load_dwordx2 s[8:9], s[0:1], 0x0                         // 000000002F78: C0060200 00000000
	s_load_dwordx2 s[20:21], s[0:1], 0x10                      // 000000002F80: C0060500 00000010
	s_load_dwordx2 s[24:25], s[0:1], 0x20                      // 000000002F88: C0060600 00000020
	s_load_dwordx2 s[50:51], s[0:1], 0x30                      // 000000002F90: C0060C80 00000030
	s_load_dwordx2 s[12:13], s[0:1], 0x40                      // 000000002F98: C0060300 00000040
	s_load_dwordx2 s[28:29], s[0:1], 0x50                      // 000000002FA0: C0060700 00000050
	s_load_dwordx2 s[32:33], s[0:1], 0x60                      // 000000002FA8: C0060800 00000060
	s_load_dwordx2 s[16:17], s[0:1], 0x70                      // 000000002FB0: C0060400 00000070
	s_load_dwordx2 s[36:37], s[0:1], 0x80                      // 000000002FB8: C0060900 00000080
	s_load_dwordx2 s[44:45], s[0:1], 0x90                      // 000000002FC0: C0060B00 00000090
	s_load_dwordx2 s[40:41], s[0:1], 0xa0                      // 000000002FC8: C0060A00 000000A0
	s_load_dwordx2 s[46:47], s[0:1], 0xb0                      // 000000002FD0: C0060B80 000000B0
	s_load_dword s64, s[0:1], 0xc0                             // 000000002FD8: C0021000 000000C0
	s_load_dword s65, s[0:1], 0xd0                             // 000000002FE0: C0021040 000000D0
	s_load_dword s67, s[0:1], 0xf0                             // 000000002FE8: C00210C0 000000F0
	s_load_dword s68, s[0:1], 0x100                            // 000000002FF0: C0021100 00000100
	s_load_dword s69, s[0:1], 0x110                            // 000000002FF8: C0021140 00000110
	s_load_dword s70, s[0:1], 0x120                            // 000000003000: C0021180 00000120
	s_load_dword s71, s[0:1], 0x130                            // 000000003008: C00211C0 00000130
	s_load_dword s72, s[0:1], 0x140                            // 000000003010: C0021200 00000140
	s_load_dword s73, s[0:1], 0x150                            // 000000003018: C0021240 00000150
	s_load_dword s74, s[0:1], 0x160                            // 000000003020: C0021280 00000160
	s_load_dword s75, s[0:1], 0x170                            // 000000003028: C00212C0 00000170
	s_load_dword s76, s[0:1], 0x180                            // 000000003030: C0021300 00000180
	s_load_dword s63, s[0:1], 0x190                            // 000000003038: C0020FC0 00000190
	s_mov_b32 s2, s2                                           // 000000003040: BE820002
	s_mov_b32 s3, s3                                           // 000000003044: BE830003
	s_mov_b32 s4, s4                                           // 000000003048: BE840004
	s_waitcnt lgkmcnt(0)                                       // 00000000304C: BF8CC07F
	s_and_b32 s51, s51, 0xffff                                 // 000000003050: 8633FF33 0000FFFF
	s_load_dword s66, s[50:51], 0x4                            // 000000003058: C0021099 00000004
	s_load_dword s50, s[50:51], 0x0                            // 000000003060: C0020C99 00000000
	s_waitcnt lgkmcnt(0)                                       // 000000003068: BF8CC07F
	s_and_b32 s45, s45, 0xffff                                 // 00000000306C: 862DFF2D 0000FFFF
	s_and_b32 s47, s47, 0xffff                                 // 000000003074: 862FFF2F 0000FFFF
	s_and_b32 s9, s9, 0xffff                                   // 00000000307C: 8609FF09 0000FFFF
	s_mul_i32 s60, s66, s68                                    // 000000003084: 923C4442
	s_mul_i32 s60, s63, s60                                    // 000000003088: 923C3C3F
	s_mul_i32 s61, s66, 4                                      // 00000000308C: 923D8442
	s_mul_i32 s61, s63, s61                                    // 000000003090: 923D3D3F
	s_mov_b32 s22, s60                                         // 000000003094: BE96003C
	s_mov_b32 s26, -16                                         // 000000003098: BE9A00D0
	s_mov_b32 s14, -16                                         // 00000000309C: BE8E00D0
	s_mov_b32 s42, -16                                         // 0000000030A0: BEAA00D0
	s_mov_b32 s30, s61                                         // 0000000030A4: BE9E003D
	s_mov_b32 s34, 0x500                                       // 0000000030A8: BEA200FF 00000500
	s_mov_b32 s38, 0x500                                       // 0000000030B0: BEA600FF 00000500
	s_mov_b32 s18, -16                                         // 0000000030B8: BE9200D0
	s_mov_b32 s23, 0x20000                                     // 0000000030BC: BE9700FF 00020000
	s_mov_b32 s27, 0x20000                                     // 0000000030C4: BE9B00FF 00020000
	s_mov_b32 s15, 0x20000                                     // 0000000030CC: BE8F00FF 00020000
	s_mov_b32 s43, 0x20000                                     // 0000000030D4: BEAB00FF 00020000
	s_mov_b32 s31, 0x20000                                     // 0000000030DC: BE9F00FF 00020000
	s_mov_b32 s35, 0x20000                                     // 0000000030E4: BEA300FF 00020000
	s_mov_b32 s39, 0x20000                                     // 0000000030EC: BEA700FF 00020000
	s_mov_b32 s19, 0x20000                                     // 0000000030F4: BE9300FF 00020000
	s_and_b32 s21, s21, 0xffff                                 // 0000000030FC: 8615FF15 0000FFFF
	s_and_b32 s25, s25, 0xffff                                 // 000000003104: 8619FF19 0000FFFF
	s_and_b32 s13, s13, 0xffff                                 // 00000000310C: 860DFF0D 0000FFFF
	s_and_b32 s41, s41, 0xffff                                 // 000000003114: 8629FF29 0000FFFF
	s_and_b32 s29, s29, 0xffff                                 // 00000000311C: 861DFF1D 0000FFFF
	s_and_b32 s33, s33, 0xffff                                 // 000000003124: 8621FF21 0000FFFF
	s_and_b32 s37, s37, 0xffff                                 // 00000000312C: 8625FF25 0000FFFF
	s_and_b32 s17, s17, 0xffff                                 // 000000003134: 8611FF11 0000FFFF
	s_or_b32 s21, s21, 0x40000                                 // 00000000313C: 8715FF15 00040000
	s_or_b32 s25, s25, 0x40000                                 // 000000003144: 8719FF19 00040000
	s_or_b32 s13, s13, 0x40000                                 // 00000000314C: 870DFF0D 00040000
	s_or_b32 s41, s41, 0x40000                                 // 000000003154: 8729FF29 00040000
	s_or_b32 s29, s29, 0x40000                                 // 00000000315C: 871DFF1D 00040000
	s_or_b32 s33, s33, 0x40000                                 // 000000003164: 8721FF21 00040000
	s_or_b32 s37, s37, 0x40000                                 // 00000000316C: 8725FF25 00040000
	s_or_b32 s17, s17, 0x40000                                 // 000000003174: 8711FF11 00040000
	v_accvgpr_write_b32 a159, 0                                // 00000000317C: D3D9409F 18000080
	v_mov_b32_e32 v231, 0                                      // 000000003184: 7FCE0280
	s_waitcnt lgkmcnt(0)                                       // 000000003188: BF8CC07F
	s_mul_i32 s60, s3, 32                                      // 00000000318C: 923CA003
	s_cmp_lt_i32 s60, s50                                      // 000000003190: BF04323C
	s_cbranch_scc0 label_1A56                                  // 000000003194: BF841970
	s_mov_b32 s80, 0                                           // 000000003198: BED00080
	s_mov_b32 s81, s64                                         // 00000000319C: BED10040
	s_mul_i32 s60, s3, 4                                       // 0000000031A0: 923C8403
	s_add_u32 s46, s60, s46                                    // 0000000031A4: 802E2E3C
	s_addc_u32 s47, 0, s47                                     // 0000000031A8: 822F2F80
	s_load_dword s5, s[46:47], 0x0                             // 0000000031AC: C0020157 00000000
	s_mul_i32 s60, s3, 32                                      // 0000000031B4: 923CA003
	s_mul_i32 s60, 4, s60                                      // 0000000031B8: 923C3C84
	v_and_b32_e32 v50, 15, v0                                  // 0000000031BC: 2664008F
	v_lshlrev_b32_e32 v50, 2, v50                              // 0000000031C0: 24646482
	v_add_u32_e32 v50, s60, v50                                // 0000000031C4: 6864643C
	v_mov_b32_e32 v51, 0                                       // 0000000031C8: 7E660280
	global_load_dword v6, v50, s[44:45]                        // 0000000031CC: DC508000 062C0032
	v_add_u32_e32 v50, 64, v50                                 // 0000000031D4: 686464C0
	global_load_dword v7, v50, s[44:45]                        // 0000000031D8: DC508000 072C0032
	s_mul_i32 s60, s3, 32                                      // 0000000031E0: 923CA003
	s_add_u32 s60, s7, s60                                     // 0000000031E4: 803C3C07
	s_mul_i32 s60, 4, s60                                      // 0000000031E8: 923C3C84
	s_add_u32 s44, s60, s44                                    // 0000000031EC: 802C2C3C
	s_addc_u32 s45, 0, s45                                     // 0000000031F0: 822D2D80
	s_load_dword s82, s[44:45], 0x0                            // 0000000031F4: C0021496 00000000
	s_load_dword s83, s[44:45], 0x10                           // 0000000031FC: C00214D6 00000010
	s_load_dword s84, s[44:45], 0x20                           // 000000003204: C0021516 00000020
	s_load_dword s85, s[44:45], 0x30                           // 00000000320C: C0021556 00000030
	s_load_dword s86, s[44:45], 0x40                           // 000000003214: C0021596 00000040
	s_load_dword s87, s[44:45], 0x50                           // 00000000321C: C00215D6 00000050
	s_load_dword s88, s[44:45], 0x60                           // 000000003224: C0021616 00000060
	s_load_dword s89, s[44:45], 0x70                           // 00000000322C: C0021656 00000070
	s_waitcnt lgkmcnt(0)                                       // 000000003234: BF8CC07F
	v_lshlrev_b32_e32 v50, 2, v0                               // 000000003238: 24640082
	s_lshr_b32 s61, s82, 24                                    // 00000000323C: 8F3D9852
	s_mul_i32 s61, s61, s68                                    // 000000003240: 923D443D
	s_mul_i32 s61, s61, s66                                    // 000000003244: 923D423D
	s_and_b32 s82, s82, 0xffffff                               // 000000003248: 8652FF52 00FFFFFF
	s_mul_i32 s60, s82, s68                                    // 000000003250: 923C4452
	s_add_u32 s60, s61, s60                                    // 000000003254: 803C3C3D
	v_add_u32_e64 v26, v50, s60                                // 000000003258: D134001A 00007932
	s_lshr_b32 s61, s83, 24                                    // 000000003260: 8F3D9853
	s_mul_i32 s61, s61, s68                                    // 000000003264: 923D443D
	s_mul_i32 s61, s61, s66                                    // 000000003268: 923D423D
	s_and_b32 s83, s83, 0xffffff                               // 00000000326C: 8653FF53 00FFFFFF
	s_mul_i32 s60, s83, s68                                    // 000000003274: 923C4453
	s_add_u32 s60, s61, s60                                    // 000000003278: 803C3C3D
	v_add_u32_e64 v27, v50, s60                                // 00000000327C: D134001B 00007932
	s_lshr_b32 s61, s84, 24                                    // 000000003284: 8F3D9854
	s_mul_i32 s61, s61, s68                                    // 000000003288: 923D443D
	s_mul_i32 s61, s61, s66                                    // 00000000328C: 923D423D
	s_and_b32 s84, s84, 0xffffff                               // 000000003290: 8654FF54 00FFFFFF
	s_mul_i32 s60, s84, s68                                    // 000000003298: 923C4454
	s_add_u32 s60, s61, s60                                    // 00000000329C: 803C3C3D
	v_add_u32_e64 v28, v50, s60                                // 0000000032A0: D134001C 00007932
	s_lshr_b32 s61, s85, 24                                    // 0000000032A8: 8F3D9855
	s_mul_i32 s61, s61, s68                                    // 0000000032AC: 923D443D
	s_mul_i32 s61, s61, s66                                    // 0000000032B0: 923D423D
	s_and_b32 s85, s85, 0xffffff                               // 0000000032B4: 8655FF55 00FFFFFF
	s_mul_i32 s60, s85, s68                                    // 0000000032BC: 923C4455
	s_add_u32 s60, s61, s60                                    // 0000000032C0: 803C3C3D
	v_add_u32_e64 v29, v50, s60                                // 0000000032C4: D134001D 00007932
	s_lshr_b32 s61, s86, 24                                    // 0000000032CC: 8F3D9856
	s_mul_i32 s61, s61, s68                                    // 0000000032D0: 923D443D
	s_mul_i32 s61, s61, s66                                    // 0000000032D4: 923D423D
	s_and_b32 s86, s86, 0xffffff                               // 0000000032D8: 8656FF56 00FFFFFF
	s_mul_i32 s60, s86, s68                                    // 0000000032E0: 923C4456
	s_add_u32 s60, s61, s60                                    // 0000000032E4: 803C3C3D
	v_add_u32_e64 v30, v50, s60                                // 0000000032E8: D134001E 00007932
	s_lshr_b32 s61, s87, 24                                    // 0000000032F0: 8F3D9857
	s_mul_i32 s61, s61, s68                                    // 0000000032F4: 923D443D
	s_mul_i32 s61, s61, s66                                    // 0000000032F8: 923D423D
	s_and_b32 s87, s87, 0xffffff                               // 0000000032FC: 8657FF57 00FFFFFF
	s_mul_i32 s60, s87, s68                                    // 000000003304: 923C4457
	s_add_u32 s60, s61, s60                                    // 000000003308: 803C3C3D
	v_add_u32_e64 v31, v50, s60                                // 00000000330C: D134001F 00007932
	s_lshr_b32 s61, s88, 24                                    // 000000003314: 8F3D9858
	s_mul_i32 s61, s61, s68                                    // 000000003318: 923D443D
	s_mul_i32 s61, s61, s66                                    // 00000000331C: 923D423D
	s_and_b32 s88, s88, 0xffffff                               // 000000003320: 8658FF58 00FFFFFF
	s_mul_i32 s60, s88, s68                                    // 000000003328: 923C4458
	s_add_u32 s60, s61, s60                                    // 00000000332C: 803C3C3D
	v_add_u32_e64 v32, v50, s60                                // 000000003330: D1340020 00007932
	s_lshr_b32 s61, s89, 24                                    // 000000003338: 8F3D9859
	s_mul_i32 s61, s61, s68                                    // 00000000333C: 923D443D
	s_mul_i32 s61, s61, s66                                    // 000000003340: 923D423D
	s_and_b32 s89, s89, 0xffffff                               // 000000003344: 8659FF59 00FFFFFF
	s_mul_i32 s60, s89, s68                                    // 00000000334C: 923C4459
	s_add_u32 s60, s61, s60                                    // 000000003350: 803C3C3D
	v_add_u32_e64 v33, v50, s60                                // 000000003354: D1340021 00007932
	v_lshlrev_b32_e32 v50, 2, v0                               // 00000000335C: 24640082
	s_mul_i32 s60, s82, s71                                    // 000000003360: 923C4752
	v_add_u32_e64 v80, v50, s60                                // 000000003364: D1340050 00007932
	v_mov_b32_e32 v81, 0                                       // 00000000336C: 7EA20280
	s_mul_i32 s60, s83, s71                                    // 000000003370: 923C4753
	v_add_u32_e64 v82, v50, s60                                // 000000003374: D1340052 00007932
	v_mov_b32_e32 v83, 0                                       // 00000000337C: 7EA60280
	s_mul_i32 s60, s84, s71                                    // 000000003380: 923C4754
	v_add_u32_e64 v84, v50, s60                                // 000000003384: D1340054 00007932
	v_mov_b32_e32 v85, 0                                       // 00000000338C: 7EAA0280
	s_mul_i32 s60, s85, s71                                    // 000000003390: 923C4755
	v_add_u32_e64 v86, v50, s60                                // 000000003394: D1340056 00007932
	v_mov_b32_e32 v87, 0                                       // 00000000339C: 7EAE0280
	s_mul_i32 s60, s86, s71                                    // 0000000033A0: 923C4756
	v_add_u32_e64 v88, v50, s60                                // 0000000033A4: D1340058 00007932
	v_mov_b32_e32 v89, 0                                       // 0000000033AC: 7EB20280
	s_mul_i32 s60, s87, s71                                    // 0000000033B0: 923C4757
	v_add_u32_e64 v90, v50, s60                                // 0000000033B4: D134005A 00007932
	v_mov_b32_e32 v91, 0                                       // 0000000033BC: 7EB60280
	s_mul_i32 s60, s88, s71                                    // 0000000033C0: 923C4758
	v_add_u32_e64 v92, v50, s60                                // 0000000033C4: D134005C 00007932
	v_mov_b32_e32 v93, 0                                       // 0000000033CC: 7EBA0280
	s_mul_i32 s60, s89, s71                                    // 0000000033D0: 923C4759
	v_add_u32_e64 v94, v50, s60                                // 0000000033D4: D134005E 00007932
	v_mov_b32_e32 v95, 0                                       // 0000000033DC: 7EBE0280
	s_mul_i32 s60, s7, 0x820                                   // 0000000033E0: 923CFF07 00000820
	s_add_u32 s50, 0, s60                                      // 0000000033E8: 80323C80
	s_add_u32 s51, 0x2080, s50                                 // 0000000033EC: 803332FF 00002080
	v_lshrrev_b32_e32 v50, 4, v0                               // 0000000033F4: 20640084
	v_lshlrev_b32_e32 v51, 2, v50                              // 0000000033F8: 24666482
	v_and_b32_e32 v50, 15, v0                                  // 0000000033FC: 2664008F
	v_lshrrev_b32_e32 v52, 2, v50                              // 000000003400: 20686482
	v_lshlrev_b32_e32 v52, 6, v52                              // 000000003404: 24686886
	v_add_u32_e32 v51, v52, v51                                // 000000003408: 68666734
	v_and_b32_e32 v50, 3, v0                                   // 00000000340C: 26640083
	v_mul_i32_i24_e32 v52, 0x208, v50                          // 000000003410: 0C6864FF 00000208
	v_add_u32_e32 v51, v52, v51                                // 000000003418: 68666734
	v_lshlrev_b32_e32 v2, 2, v51                               // 00000000341C: 24046682
	s_mul_i32 s60, s2, 0x140                                   // 000000003420: 923CFF02 00000140
	s_mul_i32 s60, s60, s69                                    // 000000003428: 923C453C
	s_mul_i32 s61, s5, s72                                     // 00000000342C: 923D4805
	s_add_u32 s60, s61, s60                                    // 000000003430: 803C3C3D
	s_add_u32 s24, s60, s24                                    // 000000003434: 8018183C
	s_addc_u32 s25, 0, s25                                     // 000000003438: 82191980
	s_mul_i32 s60, s7, 16                                      // 00000000343C: 923C9007
	s_mul_i32 s60, s60, s69                                    // 000000003440: 923C453C
	v_lshlrev_b32_e32 v34, 4, v0                               // 000000003444: 24440084
	v_add_u32_e32 v34, s60, v34                                // 000000003448: 6844443C
	s_mul_i32 s60, 64, s69                                     // 00000000344C: 923C45C0
	v_add_u32_e32 v35, s60, v34                                // 000000003450: 6846443C
	v_add_u32_e32 v36, s60, v35                                // 000000003454: 6848463C
	v_add_u32_e32 v37, s60, v36                                // 000000003458: 684A483C
	v_add_u32_e32 v38, s60, v37                                // 00000000345C: 684C4A3C
	s_mov_b32 s92, s24                                         // 000000003460: BEDC0018
	s_mov_b32 s93, s25                                         // 000000003464: BEDD0019
	s_mov_b32 s94, s26                                         // 000000003468: BEDE001A
	s_mov_b32 s95, s27                                         // 00000000346C: BEDF001B
	s_mul_i32 s60, s69, s65                                    // 000000003470: 923C4145
	s_add_u32 s92, s60, s92                                    // 000000003474: 805C5C3C
	s_addc_u32 s93, 0, s93                                     // 000000003478: 825D5D80
	s_mul_i32 s60, s2, 0x1400                                  // 00000000347C: 923CFF02 00001400
	s_mul_i32 s61, s5, s73                                     // 000000003484: 923D4905
	s_add_u32 s60, s61, s60                                    // 000000003488: 803C3C3D
	s_add_u32 s12, s60, s12                                    // 00000000348C: 800C0C3C
	s_addc_u32 s13, 0, s13                                     // 000000003490: 820D0D80
	s_mul_i32 s60, s7, 16                                      // 000000003494: 923C9007
	s_mul_i32 s60, s60, s70                                    // 000000003498: 923C463C
	v_lshlrev_b32_e32 v39, 4, v0                               // 00000000349C: 244E0084
	v_add_u32_e32 v39, s60, v39                                // 0000000034A0: 684E4E3C
	s_mul_i32 s60, 64, s70                                     // 0000000034A4: 923C46C0
	v_add_u32_e32 v40, s60, v39                                // 0000000034A8: 68504E3C
	v_add_u32_e32 v41, s60, v40                                // 0000000034AC: 6852503C
	v_add_u32_e32 v42, s60, v41                                // 0000000034B0: 6854523C
	s_mul_i32 s60, s70, 0x100                                  // 0000000034B4: 923CFF46 00000100
	s_mov_b32 s78, 0x400                                       // 0000000034BC: BECE00FF 00000400
	s_mul_i32 s61, s78, 4                                      // 0000000034C4: 923D844E
	s_sub_u32 s56, s60, s61                                    // 0000000034C8: 80B83D3C
	s_mul_i32 s60, s3, 32                                      // 0000000034CC: 923CA003
	s_mul_i32 s60, 4, s60                                      // 0000000034D0: 923C3C84
	s_add_u32 s40, s60, s40                                    // 0000000034D4: 8028283C
	s_addc_u32 s41, 0, s41                                     // 0000000034D8: 82292980
	v_and_b32_e32 v50, 15, v0                                  // 0000000034DC: 2664008F
	v_lshlrev_b32_e32 v8, 2, v50                               // 0000000034E0: 24106482
	v_add_u32_e32 v9, 64, v8                                   // 0000000034E4: 681210C0
	v_lshrrev_b32_e32 v50, 4, v0                               // 0000000034E8: 20640084
	v_lshlrev_b32_e32 v51, 2, v50                              // 0000000034EC: 24666482
	v_and_b32_e32 v50, 15, v0                                  // 0000000034F0: 2664008F
	v_lshrrev_b32_e32 v52, 2, v50                              // 0000000034F4: 20686482
	v_lshlrev_b32_e32 v52, 6, v52                              // 0000000034F8: 24686886
	v_add_u32_e32 v51, v52, v51                                // 0000000034FC: 68666734
	v_and_b32_e32 v50, 3, v0                                   // 000000003500: 26640083
	v_add_u32_e32 v51, v50, v51                                // 000000003504: 68666732
	v_lshlrev_b32_e32 v10, 2, v51                              // 000000003508: 24146682
	v_add_u32_e32 v11, 0x400, v10                              // 00000000350C: 681614FF 00000400
	s_mul_i32 s60, s7, 16                                      // 000000003514: 923C9007
	s_mul_i32 s60, s60, 4                                      // 000000003518: 923C843C
	v_add_u32_e32 v10, s60, v10                                // 00000000351C: 6814143C
	v_add_u32_e32 v11, s60, v11                                // 000000003520: 6816163C
	v_mov_b32_e32 v5, v10                                      // 000000003524: 7E0A030A
	s_mul_i32 s60, s2, 0x140                                   // 000000003528: 923CFF02 00000140
	s_mul_i32 s60, s60, 4                                      // 000000003530: 923C843C
	s_mul_i32 s61, s5, s74                                     // 000000003534: 923D4A05
	s_add_u32 s61, s61, s60                                    // 000000003538: 803D3C3D
	s_mul_i32 s62, s5, s76                                     // 00000000353C: 923E4C05
	s_add_u32 s62, s62, s60                                    // 000000003540: 803E3C3E
	s_add_u32 s32, s61, s32                                    // 000000003544: 8020203D
	s_addc_u32 s33, 0, s33                                     // 000000003548: 82212180
	s_add_u32 s36, s62, s36                                    // 00000000354C: 8024243E
	s_addc_u32 s37, 0, s37                                     // 000000003550: 82252580
	s_mul_i32 s60, s5, s75                                     // 000000003554: 923C4B05
	s_add_u32 s16, s60, s16                                    // 000000003558: 8010103C
	s_addc_u32 s17, 0, s17                                     // 00000000355C: 82111180
	s_mov_b32 s57, 0x100                                       // 000000003560: BEB900FF 00000100
	s_mov_b32 s58, 0x1000                                      // 000000003568: BEBA00FF 00001000
	s_mov_b32 s79, 0x400                                       // 000000003570: BECF00FF 00000400
	s_mov_b32 s59, 0x200                                       // 000000003578: BEBB00FF 00000200
	s_mov_b32 s90, s58                                         // 000000003580: BEDA003A
	s_mov_b32 s52, 0x7060302                                   // 000000003584: BEB400FF 07060302
	s_mov_b32 s53, 0x400                                       // 00000000358C: BEB500FF 00000400
	s_mov_b32 s54, 0x40100                                     // 000000003594: BEB600FF 00040100
	s_mov_b32 s55, 0x4020100                                   // 00000000359C: BEB700FF 04020100
	s_mov_b32 s6, 0x3fb8aa3b                                   // 0000000035A4: BE8600FF 3FB8AA3B
	s_mov_b32 s77, 0xbd92220c                                  // 0000000035AC: BECD00FF BD92220C
	s_mov_b32 m0, s50                                          // 0000000035B4: BEFC0032
	v_mov_b32_e32 v1, 0xbfcc4231                               // 0000000035B8: 7E0202FF BFCC4231
	v_mov_b32_e32 v44, 0xffff0000                              // 0000000035C0: 7E5802FF FFFF0000
	v_mov_b32_e32 v45, 0x7fff0000                              // 0000000035C8: 7E5A02FF 7FFF0000
	v_mov_b32_e32 v46, 0x7fff                                  // 0000000035D0: 7E5C02FF 00007FFF
	s_waitcnt vmcnt(0) expcnt(0) lgkmcnt(0)                    // 0000000035D8: BF8C0000
	v_lshrrev_b32_e32 v50, 24, v6                              // 0000000035DC: 20640C98
	v_mul_i32_i24_e32 v50, s66, v50                            // 0000000035E0: 0C646442
	v_and_b32_e32 v51, 0xffffff, v6                            // 0000000035E4: 26660CFF 00FFFFFF
	v_add_u32_e32 v6, v50, v51                                 // 0000000035EC: 680C6732
	v_lshrrev_b32_e32 v50, 24, v7                              // 0000000035F0: 20640E98
	v_mul_i32_i24_e32 v50, s66, v50                            // 0000000035F4: 0C646442
	v_and_b32_e32 v51, 0xffffff, v7                            // 0000000035F8: 26660EFF 00FFFFFF
	v_add_u32_e32 v7, v50, v51                                 // 000000003600: 680E6732
	v_lshlrev_b32_e32 v6, 2, v6                                // 000000003604: 240C0C82
	v_lshlrev_b32_e32 v7, 2, v7                                // 000000003608: 240E0E82
	buffer_load_dword v14, v6, s[28:31], 0 offen               // 00000000360C: E0501000 80070E06
	buffer_load_dword v15, v7, s[28:31], 0 offen               // 000000003614: E0501000 80070F07
	buffer_load_dword v16, v10, s[32:35], 0 offen              // 00000000361C: E0501000 8008100A
	buffer_load_dword v17, v11, s[32:35], 0 offen              // 000000003624: E0501000 8008110B
	s_mul_i32 s60, 4, s65                                      // 00000000362C: 923C4184
	s_add_u32 s32, s60, s32                                    // 000000003630: 8020203C
	s_addc_u32 s33, 0, s33                                     // 000000003634: 82212180
	buffer_load_dword v47, v10, s[32:35], 0 offen              // 000000003638: E0501000 80082F0A
	buffer_load_dword v48, v11, s[32:35], 0 offen              // 000000003640: E0501000 8008300B
	buffer_load_dword v18, v10, s[36:39], 0 offen              // 000000003648: E0501000 8009120A
	buffer_load_dword v19, v11, s[36:39], 0 offen              // 000000003650: E0501000 8009130B
	buffer_load_dword v20, v8, s[40:43], 0 offen               // 000000003658: E0501000 800A1408
	buffer_load_dword v21, v9, s[40:43], 0 offen               // 000000003660: E0501000 800A1509
	buffer_load_dword v26, s[20:23], 0 offen lds               // 000000003668: E0511000 8005001A
	s_add_u32 m0, 0x100, s50                                   // 000000003670: 807C32FF 00000100
	buffer_load_dword v27, s[20:23], 0 offen lds               // 000000003678: E0511000 8005001B
	s_add_u32 m0, 0x200, s50                                   // 000000003680: 807C32FF 00000200
	buffer_load_dword v28, s[20:23], 0 offen lds               // 000000003688: E0511000 8005001C
	s_add_u32 m0, 0x300, s50                                   // 000000003690: 807C32FF 00000300
	buffer_load_dword v29, s[20:23], 0 offen lds               // 000000003698: E0511000 8005001D
	s_add_u32 m0, 0x400, s50                                   // 0000000036A0: 807C32FF 00000400
	buffer_load_dword v30, s[20:23], 0 offen lds               // 0000000036A8: E0511000 8005001E
	s_add_u32 m0, 0x500, s50                                   // 0000000036B0: 807C32FF 00000500
	buffer_load_dword v31, s[20:23], 0 offen lds               // 0000000036B8: E0511000 8005001F
	s_add_u32 m0, 0x600, s50                                   // 0000000036C0: 807C32FF 00000600
	buffer_load_dword v32, s[20:23], 0 offen lds               // 0000000036C8: E0511000 80050020
	s_add_u32 m0, 0x700, s50                                   // 0000000036D0: 807C32FF 00000700
	buffer_load_dword v33, s[20:23], 0 offen lds               // 0000000036D8: E0511000 80050021
	s_add_u32 m0, 0, s51                                       // 0000000036E0: 807C3380
	s_add_u32 s20, s57, s20                                    // 0000000036E4: 80141439
	s_addc_u32 s21, 0, s21                                     // 0000000036E8: 82151580
	buffer_load_dwordx4 a[0:3], v34, s[24:27], 0 offen         // 0000000036EC: E05C1000 80860022
	buffer_load_dwordx4 a[4:7], v34, s[24:27], 0 offen offset:1024// 0000000036F4: E05C1400 80860422
	buffer_load_dwordx4 a[8:11], v34, s[24:27], 0 offen offset:2048// 0000000036FC: E05C1800 80860822
	buffer_load_dwordx4 a[12:15], v34, s[24:27], 0 offen offset:3072// 000000003704: E05C1C00 80860C22
	buffer_load_dwordx4 a[16:19], v35, s[24:27], 0 offen       // 00000000370C: E05C1000 80861023
	buffer_load_dwordx4 a[20:23], v35, s[24:27], 0 offen offset:1024// 000000003714: E05C1400 80861423
	buffer_load_dwordx4 a[24:27], v35, s[24:27], 0 offen offset:2048// 00000000371C: E05C1800 80861823
	buffer_load_dwordx4 a[28:31], v35, s[24:27], 0 offen offset:3072// 000000003724: E05C1C00 80861C23
	buffer_load_dwordx4 a[32:35], v36, s[24:27], 0 offen       // 00000000372C: E05C1000 80862024
	buffer_load_dwordx4 a[36:39], v36, s[24:27], 0 offen offset:1024// 000000003734: E05C1400 80862424
	buffer_load_dwordx4 a[40:43], v36, s[24:27], 0 offen offset:2048// 00000000373C: E05C1800 80862824
	buffer_load_dwordx4 a[44:47], v36, s[24:27], 0 offen offset:3072// 000000003744: E05C1C00 80862C24
	buffer_load_dwordx4 a[48:51], v37, s[24:27], 0 offen       // 00000000374C: E05C1000 80863025
	buffer_load_dwordx4 a[52:55], v37, s[24:27], 0 offen offset:1024// 000000003754: E05C1400 80863425
	buffer_load_dwordx4 a[56:59], v37, s[24:27], 0 offen offset:2048// 00000000375C: E05C1800 80863825
	buffer_load_dwordx4 a[60:63], v37, s[24:27], 0 offen offset:3072// 000000003764: E05C1C00 80863C25
	buffer_load_dwordx4 a[64:67], v38, s[24:27], 0 offen       // 00000000376C: E05C1000 80864026
	buffer_load_dwordx4 a[68:71], v38, s[24:27], 0 offen offset:1024// 000000003774: E05C1400 80864426
	buffer_load_dwordx4 a[72:75], v38, s[24:27], 0 offen offset:2048// 00000000377C: E05C1800 80864826
	buffer_load_dwordx4 a[76:79], v38, s[24:27], 0 offen offset:3072// 000000003784: E05C1C00 80864C26
	s_add_u32 s24, s58, s24                                    // 00000000378C: 8018183A
	s_addc_u32 s25, 0, s25                                     // 000000003790: 82191980
	v_mov_b32_e32 v128, 0                                      // 000000003794: 7F000280
	v_mov_b32_e32 v64, 0                                       // 000000003798: 7E800280
	v_mov_b32_e32 v129, 0                                      // 00000000379C: 7F020280
	v_mov_b32_e32 v65, 0                                       // 0000000037A0: 7E820280
	v_mov_b32_e32 v130, 0                                      // 0000000037A4: 7F040280
	v_mov_b32_e32 v66, 0                                       // 0000000037A8: 7E840280
	v_mov_b32_e32 v131, 0                                      // 0000000037AC: 7F060280
	v_mov_b32_e32 v67, 0                                       // 0000000037B0: 7E860280
	v_mov_b32_e32 v132, 0                                      // 0000000037B4: 7F080280
	v_mov_b32_e32 v68, 0                                       // 0000000037B8: 7E880280
	v_mov_b32_e32 v133, 0                                      // 0000000037BC: 7F0A0280
	v_mov_b32_e32 v69, 0                                       // 0000000037C0: 7E8A0280
	v_mov_b32_e32 v134, 0                                      // 0000000037C4: 7F0C0280
	v_mov_b32_e32 v70, 0                                       // 0000000037C8: 7E8C0280
	v_mov_b32_e32 v135, 0                                      // 0000000037CC: 7F0E0280
	v_mov_b32_e32 v71, 0                                       // 0000000037D0: 7E8E0280
	v_mov_b32_e32 v136, 0                                      // 0000000037D4: 7F100280
	v_mov_b32_e32 v72, 0                                       // 0000000037D8: 7E900280
	v_mov_b32_e32 v137, 0                                      // 0000000037DC: 7F120280
	v_mov_b32_e32 v73, 0                                       // 0000000037E0: 7E920280
	v_mov_b32_e32 v138, 0                                      // 0000000037E4: 7F140280
	v_mov_b32_e32 v74, 0                                       // 0000000037E8: 7E940280
	v_mov_b32_e32 v139, 0                                      // 0000000037EC: 7F160280
	v_mov_b32_e32 v75, 0                                       // 0000000037F0: 7E960280
	v_mov_b32_e32 v140, 0                                      // 0000000037F4: 7F180280
	v_mov_b32_e32 v76, 0                                       // 0000000037F8: 7E980280
	v_mov_b32_e32 v141, 0                                      // 0000000037FC: 7F1A0280
	v_mov_b32_e32 v77, 0                                       // 000000003800: 7E9A0280
	v_mov_b32_e32 v142, 0                                      // 000000003804: 7F1C0280
	v_mov_b32_e32 v78, 0                                       // 000000003808: 7E9C0280
	v_mov_b32_e32 v143, 0                                      // 00000000380C: 7F1E0280
	v_mov_b32_e32 v79, 0                                       // 000000003810: 7E9E0280
	v_mov_b32_e32 v144, 0                                      // 000000003814: 7F200280
	v_mov_b32_e32 v80, 0                                       // 000000003818: 7EA00280
	v_mov_b32_e32 v145, 0                                      // 00000000381C: 7F220280
	v_mov_b32_e32 v81, 0                                       // 000000003820: 7EA20280
	v_mov_b32_e32 v146, 0                                      // 000000003824: 7F240280
	v_mov_b32_e32 v82, 0                                       // 000000003828: 7EA40280
	v_mov_b32_e32 v147, 0                                      // 00000000382C: 7F260280
	v_mov_b32_e32 v83, 0                                       // 000000003830: 7EA60280
	v_mov_b32_e32 v148, 0                                      // 000000003834: 7F280280
	v_mov_b32_e32 v84, 0                                       // 000000003838: 7EA80280
	v_mov_b32_e32 v149, 0                                      // 00000000383C: 7F2A0280
	v_mov_b32_e32 v85, 0                                       // 000000003840: 7EAA0280
	v_mov_b32_e32 v150, 0                                      // 000000003844: 7F2C0280
	v_mov_b32_e32 v86, 0                                       // 000000003848: 7EAC0280
	v_mov_b32_e32 v151, 0                                      // 00000000384C: 7F2E0280
	v_mov_b32_e32 v87, 0                                       // 000000003850: 7EAE0280
	v_mov_b32_e32 v152, 0                                      // 000000003854: 7F300280
	v_mov_b32_e32 v88, 0                                       // 000000003858: 7EB00280
	v_mov_b32_e32 v153, 0                                      // 00000000385C: 7F320280
	v_mov_b32_e32 v89, 0                                       // 000000003860: 7EB20280
	v_mov_b32_e32 v154, 0                                      // 000000003864: 7F340280
	v_mov_b32_e32 v90, 0                                       // 000000003868: 7EB40280
	v_mov_b32_e32 v155, 0                                      // 00000000386C: 7F360280
	v_mov_b32_e32 v91, 0                                       // 000000003870: 7EB60280
	v_mov_b32_e32 v156, 0                                      // 000000003874: 7F380280
	v_mov_b32_e32 v92, 0                                       // 000000003878: 7EB80280
	v_mov_b32_e32 v157, 0                                      // 00000000387C: 7F3A0280
	v_mov_b32_e32 v93, 0                                       // 000000003880: 7EBA0280
	v_mov_b32_e32 v158, 0                                      // 000000003884: 7F3C0280
	v_mov_b32_e32 v94, 0                                       // 000000003888: 7EBC0280
	v_mov_b32_e32 v159, 0                                      // 00000000388C: 7F3E0280
	v_mov_b32_e32 v95, 0                                       // 000000003890: 7EBE0280
	v_mov_b32_e32 v160, 0                                      // 000000003894: 7F400280
	v_mov_b32_e32 v96, 0                                       // 000000003898: 7EC00280
	v_mov_b32_e32 v161, 0                                      // 00000000389C: 7F420280
	v_mov_b32_e32 v97, 0                                       // 0000000038A0: 7EC20280
	v_mov_b32_e32 v162, 0                                      // 0000000038A4: 7F440280
	v_mov_b32_e32 v98, 0                                       // 0000000038A8: 7EC40280
	v_mov_b32_e32 v163, 0                                      // 0000000038AC: 7F460280
	v_mov_b32_e32 v99, 0                                       // 0000000038B0: 7EC60280
	v_mov_b32_e32 v164, 0                                      // 0000000038B4: 7F480280
	v_mov_b32_e32 v100, 0                                      // 0000000038B8: 7EC80280
	v_mov_b32_e32 v165, 0                                      // 0000000038BC: 7F4A0280
	v_mov_b32_e32 v101, 0                                      // 0000000038C0: 7ECA0280
	v_mov_b32_e32 v166, 0                                      // 0000000038C4: 7F4C0280
	v_mov_b32_e32 v102, 0                                      // 0000000038C8: 7ECC0280
	v_mov_b32_e32 v167, 0                                      // 0000000038CC: 7F4E0280
	v_mov_b32_e32 v103, 0                                      // 0000000038D0: 7ECE0280
	v_lshrrev_b32_e32 v50, 4, v0                               // 0000000038D4: 20640084
	v_mul_i32_i24_e32 v3, 34, v50                              // 0000000038D8: 0C0664A2
	v_and_b32_e32 v50, 15, v0                                  // 0000000038DC: 2664008F
	v_mul_i32_i24_e32 v51, 2, v50                              // 0000000038E0: 0C666482
	v_add_u32_e32 v3, v51, v3                                  // 0000000038E4: 68060733
	s_mul_i32 s60, s7, 0x88                                    // 0000000038E8: 923CFF07 00000088
	v_add_u32_e32 v3, s60, v3                                  // 0000000038F0: 6806063C
	v_lshlrev_b32_e32 v3, 2, v3                                // 0000000038F4: 24060682
	v_lshrrev_b32_e32 v50, 1, v0                               // 0000000038F8: 20640081
	v_mul_i32_i24_e32 v4, 34, v50                              // 0000000038FC: 0C0864A2
	v_and_b32_e32 v51, 1, v0                                   // 000000003900: 26660081
	v_add_u32_e32 v4, v51, v4                                  // 000000003904: 68080933
	s_mul_i32 s60, s7, 2                                       // 000000003908: 923C8207
	v_add_u32_e32 v4, s60, v4                                  // 00000000390C: 6808083C
	v_lshlrev_b32_e32 v4, 2, v4                                // 000000003910: 24080882
	s_waitcnt vmcnt(20)                                        // 000000003914: BF8C4F74
	s_barrier                                                  // 000000003918: BF8A0000
	ds_read_b128 v[168:171], v2                                // 00000000391C: D9FE0000 A8000002
	ds_read_b128 v[172:175], v2 offset:64                      // 000000003924: D9FE0040 AC000002
	ds_read_b128 v[176:179], v2 offset:128                     // 00000000392C: D9FE0080 B0000002
	ds_read_b128 v[180:183], v2 offset:192                     // 000000003934: D9FE00C0 B4000002
	ds_read_b128 v[184:187], v2 offset:1024                    // 00000000393C: D9FE0400 B8000002
	ds_read_b128 v[188:191], v2 offset:1088                    // 000000003944: D9FE0440 BC000002
	ds_read_b128 v[192:195], v2 offset:1152                    // 00000000394C: D9FE0480 C0000002
	ds_read_b128 v[196:199], v2 offset:1216                    // 000000003954: D9FE04C0 C4000002
	s_cmp_lt_i32 s7, 2                                         // 00000000395C: BF048207
	s_cbranch_scc0 label_0E97                                  // 000000003960: BF840BBE

0000000000003964 <label_02D9>:
	s_waitcnt vmcnt(12) lgkmcnt(0)                             // 000000003964: BF8C007C
	s_barrier                                                  // 000000003968: BF8A0000
	v_mfma_f32_16x16x32_fp8_fp8 v[128:131], a[0:1], v[168:169], v[128:131]// 00000000396C: D3F30080 0E035100
	v_mfma_f32_16x16x32_fp8_fp8 v[128:131], a[2:3], v[170:171], v[128:131]// 000000003974: D3F30080 0E035502
	buffer_load_dwordx4 a[80:83], v34, s[92:95], 0 offen       // 00000000397C: E05C1000 80975022
	v_mfma_f32_16x16x32_fp8_fp8 v[128:131], a[4:5], v[172:173], v[128:131]// 000000003984: D3F30080 0E035904
	v_mfma_f32_16x16x32_fp8_fp8 v[128:131], a[6:7], v[174:175], v[128:131]// 00000000398C: D3F30080 0E035D06
	buffer_load_dword v26, s[20:23], 0 offen lds               // 000000003994: E0511000 8005001A
	s_add_u32 m0, 0x100, s51                                   // 00000000399C: 807C33FF 00000100
	v_mfma_f32_16x16x32_fp8_fp8 v[128:131], a[8:9], v[176:177], v[128:131]// 0000000039A4: D3F30080 0E036108
	v_mfma_f32_16x16x32_fp8_fp8 v[128:131], a[10:11], v[178:179], v[128:131]// 0000000039AC: D3F30080 0E03650A
	buffer_load_dwordx4 a[84:87], v34, s[92:95], 0 offen offset:1024// 0000000039B4: E05C1400 80975422
	v_mfma_f32_16x16x32_fp8_fp8 v[128:131], a[12:13], v[180:181], v[128:131]// 0000000039BC: D3F30080 0E03690C
	v_mfma_f32_16x16x32_fp8_fp8 v[128:131], a[14:15], v[182:183], v[128:131]// 0000000039C4: D3F30080 0E036D0E
	buffer_load_dword v27, s[20:23], 0 offen lds               // 0000000039CC: E0511000 8005001B
	s_add_u32 m0, 0x200, s51                                   // 0000000039D4: 807C33FF 00000200
	v_mfma_f32_16x16x32_fp8_fp8 v[132:135], a[0:1], v[184:185], v[132:135]// 0000000039DC: D3F30084 0E137100
	v_mfma_f32_16x16x32_fp8_fp8 v[132:135], a[2:3], v[186:187], v[132:135]// 0000000039E4: D3F30084 0E137502
	buffer_load_dwordx4 a[88:91], v34, s[92:95], 0 offen offset:2048// 0000000039EC: E05C1800 80975822
	v_mfma_f32_16x16x32_fp8_fp8 v[132:135], a[4:5], v[188:189], v[132:135]// 0000000039F4: D3F30084 0E137904
	v_mfma_f32_16x16x32_fp8_fp8 v[132:135], a[6:7], v[190:191], v[132:135]// 0000000039FC: D3F30084 0E137D06
	buffer_load_dword v28, s[20:23], 0 offen lds               // 000000003A04: E0511000 8005001C
	s_add_u32 m0, 0x300, s51                                   // 000000003A0C: 807C33FF 00000300
	v_mfma_f32_16x16x32_fp8_fp8 v[132:135], a[8:9], v[192:193], v[132:135]// 000000003A14: D3F30084 0E138108
	v_mfma_f32_16x16x32_fp8_fp8 v[132:135], a[10:11], v[194:195], v[132:135]// 000000003A1C: D3F30084 0E13850A
	buffer_load_dwordx4 a[92:95], v34, s[92:95], 0 offen offset:3072// 000000003A24: E05C1C00 80975C22
	v_mfma_f32_16x16x32_fp8_fp8 v[132:135], a[12:13], v[196:197], v[132:135]// 000000003A2C: D3F30084 0E13890C
	v_mfma_f32_16x16x32_fp8_fp8 v[132:135], a[14:15], v[198:199], v[132:135]// 000000003A34: D3F30084 0E138D0E
	buffer_load_dword v29, s[20:23], 0 offen lds               // 000000003A3C: E0511000 8005001D
	s_add_u32 m0, 0x400, s51                                   // 000000003A44: 807C33FF 00000400
	v_mfma_f32_16x16x32_fp8_fp8 v[136:139], a[16:17], v[168:169], v[136:139]// 000000003A4C: D3F30088 0E235110
	v_mfma_f32_16x16x32_fp8_fp8 v[136:139], a[18:19], v[170:171], v[136:139]// 000000003A54: D3F30088 0E235512
	buffer_load_dwordx4 a[96:99], v35, s[92:95], 0 offen       // 000000003A5C: E05C1000 80976023
	v_mfma_f32_16x16x32_fp8_fp8 v[136:139], a[20:21], v[172:173], v[136:139]// 000000003A64: D3F30088 0E235914
	v_mfma_f32_16x16x32_fp8_fp8 v[136:139], a[22:23], v[174:175], v[136:139]// 000000003A6C: D3F30088 0E235D16
	buffer_load_dword v30, s[20:23], 0 offen lds               // 000000003A74: E0511000 8005001E
	s_add_u32 m0, 0x500, s51                                   // 000000003A7C: 807C33FF 00000500
	v_mfma_f32_16x16x32_fp8_fp8 v[136:139], a[24:25], v[176:177], v[136:139]// 000000003A84: D3F30088 0E236118
	v_mfma_f32_16x16x32_fp8_fp8 v[136:139], a[26:27], v[178:179], v[136:139]// 000000003A8C: D3F30088 0E23651A
	buffer_load_dwordx4 a[100:103], v35, s[92:95], 0 offen offset:1024// 000000003A94: E05C1400 80976423
	v_mfma_f32_16x16x32_fp8_fp8 v[136:139], a[28:29], v[180:181], v[136:139]// 000000003A9C: D3F30088 0E23691C
	v_mfma_f32_16x16x32_fp8_fp8 v[136:139], a[30:31], v[182:183], v[136:139]// 000000003AA4: D3F30088 0E236D1E
	buffer_load_dword v31, s[20:23], 0 offen lds               // 000000003AAC: E0511000 8005001F
	s_add_u32 m0, 0x600, s51                                   // 000000003AB4: 807C33FF 00000600
	v_mfma_f32_16x16x32_fp8_fp8 v[140:143], a[16:17], v[184:185], v[140:143]// 000000003ABC: D3F3008C 0E337110
	v_mfma_f32_16x16x32_fp8_fp8 v[140:143], a[18:19], v[186:187], v[140:143]// 000000003AC4: D3F3008C 0E337512
	buffer_load_dwordx4 a[104:107], v35, s[92:95], 0 offen offset:2048// 000000003ACC: E05C1800 80976823
	v_mfma_f32_16x16x32_fp8_fp8 v[140:143], a[20:21], v[188:189], v[140:143]// 000000003AD4: D3F3008C 0E337914
	v_mfma_f32_16x16x32_fp8_fp8 v[140:143], a[22:23], v[190:191], v[140:143]// 000000003ADC: D3F3008C 0E337D16
	buffer_load_dword v32, s[20:23], 0 offen lds               // 000000003AE4: E0511000 80050020
	s_add_u32 m0, 0x700, s51                                   // 000000003AEC: 807C33FF 00000700
	v_mfma_f32_16x16x32_fp8_fp8 v[140:143], a[24:25], v[192:193], v[140:143]// 000000003AF4: D3F3008C 0E338118
	v_mfma_f32_16x16x32_fp8_fp8 v[140:143], a[26:27], v[194:195], v[140:143]// 000000003AFC: D3F3008C 0E33851A
	buffer_load_dwordx4 a[108:111], v35, s[92:95], 0 offen offset:3072// 000000003B04: E05C1C00 80976C23
	v_mfma_f32_16x16x32_fp8_fp8 v[140:143], a[28:29], v[196:197], v[140:143]// 000000003B0C: D3F3008C 0E33891C
	v_mfma_f32_16x16x32_fp8_fp8 v[140:143], a[30:31], v[198:199], v[140:143]// 000000003B14: D3F3008C 0E338D1E
	buffer_load_dword v33, s[20:23], 0 offen lds               // 000000003B1C: E0511000 80050021
	s_add_u32 m0, 0, s50                                       // 000000003B24: 807C3280
	s_waitcnt vmcnt(24)                                        // 000000003B28: BF8C4F78
	v_mfma_f32_16x16x32_fp8_fp8 v[144:147], a[32:33], v[168:169], v[144:147]// 000000003B2C: D3F30090 0E435120
	v_mfma_f32_16x16x32_fp8_fp8 v[144:147], a[34:35], v[170:171], v[144:147]// 000000003B34: D3F30090 0E435522
	buffer_load_dwordx4 a[112:115], v36, s[92:95], 0 offen     // 000000003B3C: E05C1000 80977024
	v_mfma_f32_16x16x32_fp8_fp8 v[144:147], a[36:37], v[172:173], v[144:147]// 000000003B44: D3F30090 0E435924
	v_mfma_f32_16x16x32_fp8_fp8 v[144:147], a[38:39], v[174:175], v[144:147]// 000000003B4C: D3F30090 0E435D26
	v_mfma_f32_16x16x32_fp8_fp8 v[144:147], a[40:41], v[176:177], v[144:147]// 000000003B54: D3F30090 0E436128
	v_mfma_f32_16x16x32_fp8_fp8 v[144:147], a[42:43], v[178:179], v[144:147]// 000000003B5C: D3F30090 0E43652A
	buffer_load_dwordx4 a[116:119], v36, s[92:95], 0 offen offset:1024// 000000003B64: E05C1400 80977424
	v_mfma_f32_16x16x32_fp8_fp8 v[144:147], a[44:45], v[180:181], v[144:147]// 000000003B6C: D3F30090 0E43692C
	v_mfma_f32_16x16x32_fp8_fp8 v[144:147], a[46:47], v[182:183], v[144:147]// 000000003B74: D3F30090 0E436D2E
	v_mfma_f32_16x16x32_fp8_fp8 v[148:151], a[32:33], v[184:185], v[148:151]// 000000003B7C: D3F30094 0E537120
	v_mfma_f32_16x16x32_fp8_fp8 v[148:151], a[34:35], v[186:187], v[148:151]// 000000003B84: D3F30094 0E537522
	buffer_load_dwordx4 a[120:123], v36, s[92:95], 0 offen offset:2048// 000000003B8C: E05C1800 80977824
	v_mfma_f32_16x16x32_fp8_fp8 v[148:151], a[36:37], v[188:189], v[148:151]// 000000003B94: D3F30094 0E537924
	v_mfma_f32_16x16x32_fp8_fp8 v[148:151], a[38:39], v[190:191], v[148:151]// 000000003B9C: D3F30094 0E537D26
	v_mfma_f32_16x16x32_fp8_fp8 v[148:151], a[40:41], v[192:193], v[148:151]// 000000003BA4: D3F30094 0E538128
	v_mfma_f32_16x16x32_fp8_fp8 v[148:151], a[42:43], v[194:195], v[148:151]// 000000003BAC: D3F30094 0E53852A
	buffer_load_dwordx4 a[124:127], v36, s[92:95], 0 offen offset:3072// 000000003BB4: E05C1C00 80977C24
	v_mfma_f32_16x16x32_fp8_fp8 v[148:151], a[44:45], v[196:197], v[148:151]// 000000003BBC: D3F30094 0E53892C
	v_mfma_f32_16x16x32_fp8_fp8 v[148:151], a[46:47], v[198:199], v[148:151]// 000000003BC4: D3F30094 0E538D2E
	s_waitcnt vmcnt(24)                                        // 000000003BCC: BF8C4F78
	v_mfma_f32_16x16x32_fp8_fp8 v[152:155], a[48:49], v[168:169], v[152:155]// 000000003BD0: D3F30098 0E635130
	v_mfma_f32_16x16x32_fp8_fp8 v[152:155], a[50:51], v[170:171], v[152:155]// 000000003BD8: D3F30098 0E635532
	buffer_load_dwordx4 a[128:131], v37, s[92:95], 0 offen     // 000000003BE0: E05C1000 80978025
	v_mfma_f32_16x16x32_fp8_fp8 v[152:155], a[52:53], v[172:173], v[152:155]// 000000003BE8: D3F30098 0E635934
	v_mfma_f32_16x16x32_fp8_fp8 v[152:155], a[54:55], v[174:175], v[152:155]// 000000003BF0: D3F30098 0E635D36
	v_mfma_f32_16x16x32_fp8_fp8 v[152:155], a[56:57], v[176:177], v[152:155]// 000000003BF8: D3F30098 0E636138
	v_mfma_f32_16x16x32_fp8_fp8 v[152:155], a[58:59], v[178:179], v[152:155]// 000000003C00: D3F30098 0E63653A
	buffer_load_dwordx4 a[132:135], v37, s[92:95], 0 offen offset:1024// 000000003C08: E05C1400 80978425
	v_mfma_f32_16x16x32_fp8_fp8 v[152:155], a[60:61], v[180:181], v[152:155]// 000000003C10: D3F30098 0E63693C
	v_mfma_f32_16x16x32_fp8_fp8 v[152:155], a[62:63], v[182:183], v[152:155]// 000000003C18: D3F30098 0E636D3E
	v_mfma_f32_16x16x32_fp8_fp8 v[156:159], a[48:49], v[184:185], v[156:159]// 000000003C20: D3F3009C 0E737130
	v_mfma_f32_16x16x32_fp8_fp8 v[156:159], a[50:51], v[186:187], v[156:159]// 000000003C28: D3F3009C 0E737532
	buffer_load_dwordx4 a[136:139], v37, s[92:95], 0 offen offset:2048// 000000003C30: E05C1800 80978825
	v_mfma_f32_16x16x32_fp8_fp8 v[156:159], a[52:53], v[188:189], v[156:159]// 000000003C38: D3F3009C 0E737934
	v_mfma_f32_16x16x32_fp8_fp8 v[156:159], a[54:55], v[190:191], v[156:159]// 000000003C40: D3F3009C 0E737D36
	v_mfma_f32_16x16x32_fp8_fp8 v[156:159], a[56:57], v[192:193], v[156:159]// 000000003C48: D3F3009C 0E738138
	v_mfma_f32_16x16x32_fp8_fp8 v[156:159], a[58:59], v[194:195], v[156:159]// 000000003C50: D3F3009C 0E73853A
	buffer_load_dwordx4 a[140:143], v37, s[92:95], 0 offen offset:3072// 000000003C58: E05C1C00 80978C25
	v_mfma_f32_16x16x32_fp8_fp8 v[156:159], a[60:61], v[196:197], v[156:159]// 000000003C60: D3F3009C 0E73893C
	v_mfma_f32_16x16x32_fp8_fp8 v[156:159], a[62:63], v[198:199], v[156:159]// 000000003C68: D3F3009C 0E738D3E
	s_waitcnt vmcnt(24)                                        // 000000003C70: BF8C4F78
	v_mfma_f32_16x16x32_fp8_fp8 v[160:163], a[64:65], v[168:169], v[160:163]// 000000003C74: D3F300A0 0E835140
	v_mfma_f32_16x16x32_fp8_fp8 v[160:163], a[66:67], v[170:171], v[160:163]// 000000003C7C: D3F300A0 0E835542
	buffer_load_dwordx4 a[144:147], v38, s[92:95], 0 offen     // 000000003C84: E05C1000 80979026
	v_mfma_f32_16x16x32_fp8_fp8 v[160:163], a[68:69], v[172:173], v[160:163]// 000000003C8C: D3F300A0 0E835944
	v_mfma_f32_16x16x32_fp8_fp8 v[160:163], a[70:71], v[174:175], v[160:163]// 000000003C94: D3F300A0 0E835D46
	v_mfma_f32_16x16x32_fp8_fp8 v[160:163], a[72:73], v[176:177], v[160:163]// 000000003C9C: D3F300A0 0E836148
	v_mfma_f32_16x16x32_fp8_fp8 v[160:163], a[74:75], v[178:179], v[160:163]// 000000003CA4: D3F300A0 0E83654A
	buffer_load_dwordx4 a[148:151], v38, s[92:95], 0 offen offset:1024// 000000003CAC: E05C1400 80979426
	v_mfma_f32_16x16x32_fp8_fp8 v[160:163], a[76:77], v[180:181], v[160:163]// 000000003CB4: D3F300A0 0E83694C
	v_mfma_f32_16x16x32_fp8_fp8 v[160:163], a[78:79], v[182:183], v[160:163]// 000000003CBC: D3F300A0 0E836D4E
	v_mfma_f32_16x16x32_fp8_fp8 v[164:167], a[64:65], v[184:185], v[164:167]// 000000003CC4: D3F300A4 0E937140
	v_mfma_f32_16x16x32_fp8_fp8 v[164:167], a[66:67], v[186:187], v[164:167]// 000000003CCC: D3F300A4 0E937542
	buffer_load_dwordx4 a[152:155], v38, s[92:95], 0 offen offset:2048// 000000003CD4: E05C1800 80979826
	v_mfma_f32_16x16x32_fp8_fp8 v[164:167], a[68:69], v[188:189], v[164:167]// 000000003CDC: D3F300A4 0E937944
	v_mfma_f32_16x16x32_fp8_fp8 v[164:167], a[70:71], v[190:191], v[164:167]// 000000003CE4: D3F300A4 0E937D46
	v_mfma_f32_16x16x32_fp8_fp8 v[164:167], a[72:73], v[192:193], v[164:167]// 000000003CEC: D3F300A4 0E938148
	v_mfma_f32_16x16x32_fp8_fp8 v[164:167], a[74:75], v[194:195], v[164:167]// 000000003CF4: D3F300A4 0E93854A
	buffer_load_dwordx4 a[156:159], v38, s[92:95], 0 offen offset:3072// 000000003CFC: E05C1C00 80979C26
	v_mfma_f32_16x16x32_fp8_fp8 v[164:167], a[76:77], v[196:197], v[164:167]// 000000003D04: D3F300A4 0E93894C
	v_mfma_f32_16x16x32_fp8_fp8 v[164:167], a[78:79], v[198:199], v[164:167]// 000000003D0C: D3F300A4 0E938D4E
	s_waitcnt vmcnt(12)                                        // 000000003D14: BF8C0F7C
	s_barrier                                                  // 000000003D18: BF8A0000
	v_mfma_f32_16x16x32_fp8_fp8 v[64:67], a[80:81], v[168:169], v[64:67]// 000000003D1C: D3F30040 0D035150
	v_mfma_f32_16x16x32_fp8_fp8 v[64:67], a[82:83], v[170:171], v[64:67]// 000000003D24: D3F30040 0D035552
	buffer_load_dwordx4 a[0:3], v34, s[24:27], 0 offen         // 000000003D2C: E05C1000 80860022
	v_mfma_f32_16x16x32_fp8_fp8 v[64:67], a[84:85], v[172:173], v[64:67]// 000000003D34: D3F30040 0D035954
	v_mfma_f32_16x16x32_fp8_fp8 v[64:67], a[86:87], v[174:175], v[64:67]// 000000003D3C: D3F30040 0D035D56
	v_mfma_f32_16x16x32_fp8_fp8 v[64:67], a[88:89], v[176:177], v[64:67]// 000000003D44: D3F30040 0D036158
	v_mfma_f32_16x16x32_fp8_fp8 v[64:67], a[90:91], v[178:179], v[64:67]// 000000003D4C: D3F30040 0D03655A
	buffer_load_dwordx4 a[4:7], v34, s[24:27], 0 offen offset:1024// 000000003D54: E05C1400 80860422
	v_mfma_f32_16x16x32_fp8_fp8 v[64:67], a[92:93], v[180:181], v[64:67]// 000000003D5C: D3F30040 0D03695C
	v_mfma_f32_16x16x32_fp8_fp8 v[64:67], a[94:95], v[182:183], v[64:67]// 000000003D64: D3F30040 0D036D5E
	v_mfma_f32_16x16x32_fp8_fp8 v[68:71], a[80:81], v[184:185], v[68:71]// 000000003D6C: D3F30044 0D137150
	v_mfma_f32_16x16x32_fp8_fp8 v[68:71], a[82:83], v[186:187], v[68:71]// 000000003D74: D3F30044 0D137552
	buffer_load_dwordx4 a[8:11], v34, s[24:27], 0 offen offset:2048// 000000003D7C: E05C1800 80860822
	v_mfma_f32_16x16x32_fp8_fp8 v[68:71], a[84:85], v[188:189], v[68:71]// 000000003D84: D3F30044 0D137954
	v_mfma_f32_16x16x32_fp8_fp8 v[68:71], a[86:87], v[190:191], v[68:71]// 000000003D8C: D3F30044 0D137D56
	v_mfma_f32_16x16x32_fp8_fp8 v[68:71], a[88:89], v[192:193], v[68:71]// 000000003D94: D3F30044 0D138158
	v_mfma_f32_16x16x32_fp8_fp8 v[68:71], a[90:91], v[194:195], v[68:71]// 000000003D9C: D3F30044 0D13855A
	buffer_load_dwordx4 a[12:15], v34, s[24:27], 0 offen offset:3072// 000000003DA4: E05C1C00 80860C22
	v_mfma_f32_16x16x32_fp8_fp8 v[68:71], a[92:93], v[196:197], v[68:71]// 000000003DAC: D3F30044 0D13895C
	v_mfma_f32_16x16x32_fp8_fp8 v[68:71], a[94:95], v[198:199], v[68:71]// 000000003DB4: D3F30044 0D138D5E
	v_mfma_f32_16x16x32_fp8_fp8 v[72:75], a[96:97], v[168:169], v[72:75]// 000000003DBC: D3F30048 0D235160
	v_mfma_f32_16x16x32_fp8_fp8 v[72:75], a[98:99], v[170:171], v[72:75]// 000000003DC4: D3F30048 0D235562
	buffer_load_dwordx4 a[16:19], v35, s[24:27], 0 offen       // 000000003DCC: E05C1000 80861023
	v_mfma_f32_16x16x32_fp8_fp8 v[72:75], a[100:101], v[172:173], v[72:75]// 000000003DD4: D3F30048 0D235964
	v_mfma_f32_16x16x32_fp8_fp8 v[72:75], a[102:103], v[174:175], v[72:75]// 000000003DDC: D3F30048 0D235D66
	v_mfma_f32_16x16x32_fp8_fp8 v[72:75], a[104:105], v[176:177], v[72:75]// 000000003DE4: D3F30048 0D236168
	v_mfma_f32_16x16x32_fp8_fp8 v[72:75], a[106:107], v[178:179], v[72:75]// 000000003DEC: D3F30048 0D23656A
	buffer_load_dwordx4 a[20:23], v35, s[24:27], 0 offen offset:1024// 000000003DF4: E05C1400 80861423
	v_mfma_f32_16x16x32_fp8_fp8 v[72:75], a[108:109], v[180:181], v[72:75]// 000000003DFC: D3F30048 0D23696C
	v_mfma_f32_16x16x32_fp8_fp8 v[72:75], a[110:111], v[182:183], v[72:75]// 000000003E04: D3F30048 0D236D6E
	v_mfma_f32_16x16x32_fp8_fp8 v[76:79], a[96:97], v[184:185], v[76:79]// 000000003E0C: D3F3004C 0D337160
	v_mfma_f32_16x16x32_fp8_fp8 v[76:79], a[98:99], v[186:187], v[76:79]// 000000003E14: D3F3004C 0D337562
	buffer_load_dwordx4 a[24:27], v35, s[24:27], 0 offen offset:2048// 000000003E1C: E05C1800 80861823
	v_mfma_f32_16x16x32_fp8_fp8 v[76:79], a[100:101], v[188:189], v[76:79]// 000000003E24: D3F3004C 0D337964
	v_mfma_f32_16x16x32_fp8_fp8 v[76:79], a[102:103], v[190:191], v[76:79]// 000000003E2C: D3F3004C 0D337D66
	v_mfma_f32_16x16x32_fp8_fp8 v[76:79], a[104:105], v[192:193], v[76:79]// 000000003E34: D3F3004C 0D338168
	v_mfma_f32_16x16x32_fp8_fp8 v[76:79], a[106:107], v[194:195], v[76:79]// 000000003E3C: D3F3004C 0D33856A
	buffer_load_dwordx4 a[28:31], v35, s[24:27], 0 offen offset:3072// 000000003E44: E05C1C00 80861C23
	v_mfma_f32_16x16x32_fp8_fp8 v[76:79], a[108:109], v[196:197], v[76:79]// 000000003E4C: D3F3004C 0D33896C
	v_mfma_f32_16x16x32_fp8_fp8 v[76:79], a[110:111], v[198:199], v[76:79]// 000000003E54: D3F3004C 0D338D6E
	s_waitcnt vmcnt(16)                                        // 000000003E5C: BF8C4F70
	v_mfma_f32_16x16x32_fp8_fp8 v[80:83], a[112:113], v[168:169], v[80:83]// 000000003E60: D3F30050 0D435170
	v_mfma_f32_16x16x32_fp8_fp8 v[80:83], a[114:115], v[170:171], v[80:83]// 000000003E68: D3F30050 0D435572
	buffer_load_dwordx4 a[32:35], v36, s[24:27], 0 offen       // 000000003E70: E05C1000 80862024
	v_mfma_f32_16x16x32_fp8_fp8 v[80:83], a[116:117], v[172:173], v[80:83]// 000000003E78: D3F30050 0D435974
	v_mfma_f32_16x16x32_fp8_fp8 v[80:83], a[118:119], v[174:175], v[80:83]// 000000003E80: D3F30050 0D435D76
	ds_read_b128 v[200:203], v2 offset:8320                    // 000000003E88: D9FE2080 C8000002
	v_mfma_f32_16x16x32_fp8_fp8 v[80:83], a[120:121], v[176:177], v[80:83]// 000000003E90: D3F30050 0D436178
	v_mfma_f32_16x16x32_fp8_fp8 v[80:83], a[122:123], v[178:179], v[80:83]// 000000003E98: D3F30050 0D43657A
	buffer_load_dwordx4 a[36:39], v36, s[24:27], 0 offen offset:1024// 000000003EA0: E05C1400 80862424
	v_mfma_f32_16x16x32_fp8_fp8 v[80:83], a[124:125], v[180:181], v[80:83]// 000000003EA8: D3F30050 0D43697C
	v_mfma_f32_16x16x32_fp8_fp8 v[80:83], a[126:127], v[182:183], v[80:83]// 000000003EB0: D3F30050 0D436D7E
	ds_read_b128 v[204:207], v2 offset:8384                    // 000000003EB8: D9FE20C0 CC000002
	v_mfma_f32_16x16x32_fp8_fp8 v[84:87], a[112:113], v[184:185], v[84:87]// 000000003EC0: D3F30054 0D537170
	v_mfma_f32_16x16x32_fp8_fp8 v[84:87], a[114:115], v[186:187], v[84:87]// 000000003EC8: D3F30054 0D537572
	buffer_load_dwordx4 a[40:43], v36, s[24:27], 0 offen offset:2048// 000000003ED0: E05C1800 80862824
	v_mfma_f32_16x16x32_fp8_fp8 v[84:87], a[116:117], v[188:189], v[84:87]// 000000003ED8: D3F30054 0D537974
	v_mfma_f32_16x16x32_fp8_fp8 v[84:87], a[118:119], v[190:191], v[84:87]// 000000003EE0: D3F30054 0D537D76
	ds_read_b128 v[208:211], v2 offset:8448                    // 000000003EE8: D9FE2100 D0000002
	v_mfma_f32_16x16x32_fp8_fp8 v[84:87], a[120:121], v[192:193], v[84:87]// 000000003EF0: D3F30054 0D538178
	v_mfma_f32_16x16x32_fp8_fp8 v[84:87], a[122:123], v[194:195], v[84:87]// 000000003EF8: D3F30054 0D53857A
	buffer_load_dwordx4 a[44:47], v36, s[24:27], 0 offen offset:3072// 000000003F00: E05C1C00 80862C24
	v_mfma_f32_16x16x32_fp8_fp8 v[84:87], a[124:125], v[196:197], v[84:87]// 000000003F08: D3F30054 0D53897C
	v_mfma_f32_16x16x32_fp8_fp8 v[84:87], a[126:127], v[198:199], v[84:87]// 000000003F10: D3F30054 0D538D7E
	ds_read_b128 v[212:215], v2 offset:8512                    // 000000003F18: D9FE2140 D4000002
	s_waitcnt vmcnt(16)                                        // 000000003F20: BF8C4F70
	v_mfma_f32_16x16x32_fp8_fp8 v[88:91], a[128:129], v[168:169], v[88:91]// 000000003F24: D3F30058 0D635180
	v_mfma_f32_16x16x32_fp8_fp8 v[88:91], a[130:131], v[170:171], v[88:91]// 000000003F2C: D3F30058 0D635582
	buffer_load_dwordx4 a[48:51], v37, s[24:27], 0 offen       // 000000003F34: E05C1000 80863025
	v_mfma_f32_16x16x32_fp8_fp8 v[88:91], a[132:133], v[172:173], v[88:91]// 000000003F3C: D3F30058 0D635984
	v_mfma_f32_16x16x32_fp8_fp8 v[88:91], a[134:135], v[174:175], v[88:91]// 000000003F44: D3F30058 0D635D86
	ds_read_b128 v[216:219], v2 offset:9344                    // 000000003F4C: D9FE2480 D8000002
	v_mfma_f32_16x16x32_fp8_fp8 v[88:91], a[136:137], v[176:177], v[88:91]// 000000003F54: D3F30058 0D636188
	v_mfma_f32_16x16x32_fp8_fp8 v[88:91], a[138:139], v[178:179], v[88:91]// 000000003F5C: D3F30058 0D63658A
	buffer_load_dwordx4 a[52:55], v37, s[24:27], 0 offen offset:1024// 000000003F64: E05C1400 80863425
	v_mfma_f32_16x16x32_fp8_fp8 v[88:91], a[140:141], v[180:181], v[88:91]// 000000003F6C: D3F30058 0D63698C
	v_mfma_f32_16x16x32_fp8_fp8 v[88:91], a[142:143], v[182:183], v[88:91]// 000000003F74: D3F30058 0D636D8E
	ds_read_b128 v[220:223], v2 offset:9408                    // 000000003F7C: D9FE24C0 DC000002
	v_mfma_f32_16x16x32_fp8_fp8 v[92:95], a[128:129], v[184:185], v[92:95]// 000000003F84: D3F3005C 0D737180
	v_mfma_f32_16x16x32_fp8_fp8 v[92:95], a[130:131], v[186:187], v[92:95]// 000000003F8C: D3F3005C 0D737582
	buffer_load_dwordx4 a[56:59], v37, s[24:27], 0 offen offset:2048// 000000003F94: E05C1800 80863825
	v_mfma_f32_16x16x32_fp8_fp8 v[92:95], a[132:133], v[188:189], v[92:95]// 000000003F9C: D3F3005C 0D737984
	v_mfma_f32_16x16x32_fp8_fp8 v[92:95], a[134:135], v[190:191], v[92:95]// 000000003FA4: D3F3005C 0D737D86
	ds_read_b128 v[224:227], v2 offset:9472                    // 000000003FAC: D9FE2500 E0000002
	v_mfma_f32_16x16x32_fp8_fp8 v[92:95], a[136:137], v[192:193], v[92:95]// 000000003FB4: D3F3005C 0D738188
	v_mfma_f32_16x16x32_fp8_fp8 v[92:95], a[138:139], v[194:195], v[92:95]// 000000003FBC: D3F3005C 0D73858A
	buffer_load_dwordx4 a[60:63], v37, s[24:27], 0 offen offset:3072// 000000003FC4: E05C1C00 80863C25
	v_mfma_f32_16x16x32_fp8_fp8 v[92:95], a[140:141], v[196:197], v[92:95]// 000000003FCC: D3F3005C 0D73898C
	v_mfma_f32_16x16x32_fp8_fp8 v[92:95], a[142:143], v[198:199], v[92:95]// 000000003FD4: D3F3005C 0D738D8E
	ds_read_b128 v[228:231], v2 offset:9536                    // 000000003FDC: D9FE2540 E4000002
	s_waitcnt vmcnt(16)                                        // 000000003FE4: BF8C4F70
	v_mfma_f32_16x16x32_fp8_fp8 v[96:99], a[144:145], v[168:169], v[96:99]// 000000003FE8: D3F30060 0D835190
	v_mfma_f32_16x16x32_fp8_fp8 v[96:99], a[146:147], v[170:171], v[96:99]// 000000003FF0: D3F30060 0D835592
	buffer_load_dwordx4 a[64:67], v38, s[24:27], 0 offen       // 000000003FF8: E05C1000 80864026
	v_mfma_f32_16x16x32_fp8_fp8 v[96:99], a[148:149], v[172:173], v[96:99]// 000000004000: D3F30060 0D835994
	v_mfma_f32_16x16x32_fp8_fp8 v[96:99], a[150:151], v[174:175], v[96:99]// 000000004008: D3F30060 0D835D96
	v_mfma_f32_16x16x32_fp8_fp8 v[96:99], a[152:153], v[176:177], v[96:99]// 000000004010: D3F30060 0D836198
	v_mfma_f32_16x16x32_fp8_fp8 v[96:99], a[154:155], v[178:179], v[96:99]// 000000004018: D3F30060 0D83659A
	buffer_load_dwordx4 a[68:71], v38, s[24:27], 0 offen offset:1024// 000000004020: E05C1400 80864426
	v_mfma_f32_16x16x32_fp8_fp8 v[96:99], a[156:157], v[180:181], v[96:99]// 000000004028: D3F30060 0D83699C
	v_mfma_f32_16x16x32_fp8_fp8 v[96:99], a[158:159], v[182:183], v[96:99]// 000000004030: D3F30060 0D836D9E
	v_mfma_f32_16x16x32_fp8_fp8 v[100:103], a[144:145], v[184:185], v[100:103]// 000000004038: D3F30064 0D937190
	v_mfma_f32_16x16x32_fp8_fp8 v[100:103], a[146:147], v[186:187], v[100:103]// 000000004040: D3F30064 0D937592
	buffer_load_dwordx4 a[72:75], v38, s[24:27], 0 offen offset:2048// 000000004048: E05C1800 80864826
	v_mfma_f32_16x16x32_fp8_fp8 v[100:103], a[148:149], v[188:189], v[100:103]// 000000004050: D3F30064 0D937994
	v_mfma_f32_16x16x32_fp8_fp8 v[100:103], a[150:151], v[190:191], v[100:103]// 000000004058: D3F30064 0D937D96
	v_mfma_f32_16x16x32_fp8_fp8 v[100:103], a[152:153], v[192:193], v[100:103]// 000000004060: D3F30064 0D938198
	v_mfma_f32_16x16x32_fp8_fp8 v[100:103], a[154:155], v[194:195], v[100:103]// 000000004068: D3F30064 0D93859A
	buffer_load_dwordx4 a[76:79], v38, s[24:27], 0 offen offset:3072// 000000004070: E05C1C00 80864C26
	v_mfma_f32_16x16x32_fp8_fp8 v[100:103], a[156:157], v[196:197], v[100:103]// 000000004078: D3F30064 0D93899C
	v_mfma_f32_16x16x32_fp8_fp8 v[100:103], a[158:159], v[198:199], v[100:103]// 000000004080: D3F30064 0D938D9E
	s_add_u32 s60, 0x200, s80                                  // 000000004088: 803C50FF 00000200
	s_cmp_lt_u32 s60, s81                                      // 000000004090: BF0A513C
	s_cselect_b32 s57, s57, 0                                  // 000000004094: 85398039
	s_add_u32 s60, 0x200, s80                                  // 000000004098: 803C50FF 00000200
	s_cmp_lt_u32 s60, s81                                      // 0000000040A0: BF0A513C
	s_cselect_b32 s58, s58, 0                                  // 0000000040A4: 853A803A
	s_add_u32 s20, s57, s20                                    // 0000000040A8: 80141439
	s_addc_u32 s21, 0, s21                                     // 0000000040AC: 82151580
	s_add_u32 s24, s58, s24                                    // 0000000040B0: 8018183A
	s_addc_u32 s25, 0, s25                                     // 0000000040B4: 82191980
	s_add_u32 s92, s90, s92                                    // 0000000040B8: 805C5C5A
	s_addc_u32 s93, 0, s93                                     // 0000000040BC: 825D5D80
	s_addk_i32 s80, 0x100                                      // 0000000040C0: B7500100
	s_cmp_lt_i32 s80, s81                                      // 0000000040C4: BF045150
	s_cbranch_scc0 label_068E                                  // 0000000040C8: BF8401DB
	s_waitcnt vmcnt(12) lgkmcnt(0)                             // 0000000040CC: BF8C007C
	s_barrier                                                  // 0000000040D0: BF8A0000
	v_mfma_f32_16x16x32_fp8_fp8 v[128:131], a[0:1], v[200:201], v[128:131]// 0000000040D4: D3F30080 0E039100
	v_mfma_f32_16x16x32_fp8_fp8 v[128:131], a[2:3], v[202:203], v[128:131]// 0000000040DC: D3F30080 0E039502
	buffer_load_dwordx4 a[80:83], v34, s[92:95], 0 offen       // 0000000040E4: E05C1000 80975022
	v_mfma_f32_16x16x32_fp8_fp8 v[128:131], a[4:5], v[204:205], v[128:131]// 0000000040EC: D3F30080 0E039904
	v_mfma_f32_16x16x32_fp8_fp8 v[128:131], a[6:7], v[206:207], v[128:131]// 0000000040F4: D3F30080 0E039D06
	buffer_load_dword v26, s[20:23], 0 offen lds               // 0000000040FC: E0511000 8005001A
	s_add_u32 m0, 0x100, s50                                   // 000000004104: 807C32FF 00000100
	v_mfma_f32_16x16x32_fp8_fp8 v[128:131], a[8:9], v[208:209], v[128:131]// 00000000410C: D3F30080 0E03A108
	v_mfma_f32_16x16x32_fp8_fp8 v[128:131], a[10:11], v[210:211], v[128:131]// 000000004114: D3F30080 0E03A50A
	buffer_load_dwordx4 a[84:87], v34, s[92:95], 0 offen offset:1024// 00000000411C: E05C1400 80975422
	v_mfma_f32_16x16x32_fp8_fp8 v[128:131], a[12:13], v[212:213], v[128:131]// 000000004124: D3F30080 0E03A90C
	v_mfma_f32_16x16x32_fp8_fp8 v[128:131], a[14:15], v[214:215], v[128:131]// 00000000412C: D3F30080 0E03AD0E
	buffer_load_dword v27, s[20:23], 0 offen lds               // 000000004134: E0511000 8005001B
	s_add_u32 m0, 0x200, s50                                   // 00000000413C: 807C32FF 00000200
	v_mfma_f32_16x16x32_fp8_fp8 v[132:135], a[0:1], v[216:217], v[132:135]// 000000004144: D3F30084 0E13B100
	v_mfma_f32_16x16x32_fp8_fp8 v[132:135], a[2:3], v[218:219], v[132:135]// 00000000414C: D3F30084 0E13B502
	buffer_load_dwordx4 a[88:91], v34, s[92:95], 0 offen offset:2048// 000000004154: E05C1800 80975822
	v_mfma_f32_16x16x32_fp8_fp8 v[132:135], a[4:5], v[220:221], v[132:135]// 00000000415C: D3F30084 0E13B904
	v_mfma_f32_16x16x32_fp8_fp8 v[132:135], a[6:7], v[222:223], v[132:135]// 000000004164: D3F30084 0E13BD06
	buffer_load_dword v28, s[20:23], 0 offen lds               // 00000000416C: E0511000 8005001C
	s_add_u32 m0, 0x300, s50                                   // 000000004174: 807C32FF 00000300
	v_mfma_f32_16x16x32_fp8_fp8 v[132:135], a[8:9], v[224:225], v[132:135]// 00000000417C: D3F30084 0E13C108
	v_mfma_f32_16x16x32_fp8_fp8 v[132:135], a[10:11], v[226:227], v[132:135]// 000000004184: D3F30084 0E13C50A
	buffer_load_dwordx4 a[92:95], v34, s[92:95], 0 offen offset:3072// 00000000418C: E05C1C00 80975C22
	v_mfma_f32_16x16x32_fp8_fp8 v[132:135], a[12:13], v[228:229], v[132:135]// 000000004194: D3F30084 0E13C90C
	v_mfma_f32_16x16x32_fp8_fp8 v[132:135], a[14:15], v[230:231], v[132:135]// 00000000419C: D3F30084 0E13CD0E
	buffer_load_dword v29, s[20:23], 0 offen lds               // 0000000041A4: E0511000 8005001D
	s_add_u32 m0, 0x400, s50                                   // 0000000041AC: 807C32FF 00000400
	v_mfma_f32_16x16x32_fp8_fp8 v[136:139], a[16:17], v[200:201], v[136:139]// 0000000041B4: D3F30088 0E239110
	v_mfma_f32_16x16x32_fp8_fp8 v[136:139], a[18:19], v[202:203], v[136:139]// 0000000041BC: D3F30088 0E239512
	buffer_load_dwordx4 a[96:99], v35, s[92:95], 0 offen       // 0000000041C4: E05C1000 80976023
	v_mfma_f32_16x16x32_fp8_fp8 v[136:139], a[20:21], v[204:205], v[136:139]// 0000000041CC: D3F30088 0E239914
	v_mfma_f32_16x16x32_fp8_fp8 v[136:139], a[22:23], v[206:207], v[136:139]// 0000000041D4: D3F30088 0E239D16
	buffer_load_dword v30, s[20:23], 0 offen lds               // 0000000041DC: E0511000 8005001E
	s_add_u32 m0, 0x500, s50                                   // 0000000041E4: 807C32FF 00000500
	v_mfma_f32_16x16x32_fp8_fp8 v[136:139], a[24:25], v[208:209], v[136:139]// 0000000041EC: D3F30088 0E23A118
	v_mfma_f32_16x16x32_fp8_fp8 v[136:139], a[26:27], v[210:211], v[136:139]// 0000000041F4: D3F30088 0E23A51A
	buffer_load_dwordx4 a[100:103], v35, s[92:95], 0 offen offset:1024// 0000000041FC: E05C1400 80976423
	v_mfma_f32_16x16x32_fp8_fp8 v[136:139], a[28:29], v[212:213], v[136:139]// 000000004204: D3F30088 0E23A91C
	v_mfma_f32_16x16x32_fp8_fp8 v[136:139], a[30:31], v[214:215], v[136:139]// 00000000420C: D3F30088 0E23AD1E
	buffer_load_dword v31, s[20:23], 0 offen lds               // 000000004214: E0511000 8005001F
	s_add_u32 m0, 0x600, s50                                   // 00000000421C: 807C32FF 00000600
	v_mfma_f32_16x16x32_fp8_fp8 v[140:143], a[16:17], v[216:217], v[140:143]// 000000004224: D3F3008C 0E33B110
	v_mfma_f32_16x16x32_fp8_fp8 v[140:143], a[18:19], v[218:219], v[140:143]// 00000000422C: D3F3008C 0E33B512
	buffer_load_dwordx4 a[104:107], v35, s[92:95], 0 offen offset:2048// 000000004234: E05C1800 80976823
	v_mfma_f32_16x16x32_fp8_fp8 v[140:143], a[20:21], v[220:221], v[140:143]// 00000000423C: D3F3008C 0E33B914
	v_mfma_f32_16x16x32_fp8_fp8 v[140:143], a[22:23], v[222:223], v[140:143]// 000000004244: D3F3008C 0E33BD16
	buffer_load_dword v32, s[20:23], 0 offen lds               // 00000000424C: E0511000 80050020
	s_add_u32 m0, 0x700, s50                                   // 000000004254: 807C32FF 00000700
	v_mfma_f32_16x16x32_fp8_fp8 v[140:143], a[24:25], v[224:225], v[140:143]// 00000000425C: D3F3008C 0E33C118
	v_mfma_f32_16x16x32_fp8_fp8 v[140:143], a[26:27], v[226:227], v[140:143]// 000000004264: D3F3008C 0E33C51A
	buffer_load_dwordx4 a[108:111], v35, s[92:95], 0 offen offset:3072// 00000000426C: E05C1C00 80976C23
	v_mfma_f32_16x16x32_fp8_fp8 v[140:143], a[28:29], v[228:229], v[140:143]// 000000004274: D3F3008C 0E33C91C
	v_mfma_f32_16x16x32_fp8_fp8 v[140:143], a[30:31], v[230:231], v[140:143]// 00000000427C: D3F3008C 0E33CD1E
	buffer_load_dword v33, s[20:23], 0 offen lds               // 000000004284: E0511000 80050021
	s_add_u32 m0, 0, s51                                       // 00000000428C: 807C3380
	s_waitcnt vmcnt(24)                                        // 000000004290: BF8C4F78
	v_mfma_f32_16x16x32_fp8_fp8 v[144:147], a[32:33], v[200:201], v[144:147]// 000000004294: D3F30090 0E439120
	v_mfma_f32_16x16x32_fp8_fp8 v[144:147], a[34:35], v[202:203], v[144:147]// 00000000429C: D3F30090 0E439522
	buffer_load_dwordx4 a[112:115], v36, s[92:95], 0 offen     // 0000000042A4: E05C1000 80977024
	v_mfma_f32_16x16x32_fp8_fp8 v[144:147], a[36:37], v[204:205], v[144:147]// 0000000042AC: D3F30090 0E439924
	v_mfma_f32_16x16x32_fp8_fp8 v[144:147], a[38:39], v[206:207], v[144:147]// 0000000042B4: D3F30090 0E439D26
	v_mfma_f32_16x16x32_fp8_fp8 v[144:147], a[40:41], v[208:209], v[144:147]// 0000000042BC: D3F30090 0E43A128
	v_mfma_f32_16x16x32_fp8_fp8 v[144:147], a[42:43], v[210:211], v[144:147]// 0000000042C4: D3F30090 0E43A52A
	buffer_load_dwordx4 a[116:119], v36, s[92:95], 0 offen offset:1024// 0000000042CC: E05C1400 80977424
	v_mfma_f32_16x16x32_fp8_fp8 v[144:147], a[44:45], v[212:213], v[144:147]// 0000000042D4: D3F30090 0E43A92C
	v_mfma_f32_16x16x32_fp8_fp8 v[144:147], a[46:47], v[214:215], v[144:147]// 0000000042DC: D3F30090 0E43AD2E
	v_mfma_f32_16x16x32_fp8_fp8 v[148:151], a[32:33], v[216:217], v[148:151]// 0000000042E4: D3F30094 0E53B120
	v_mfma_f32_16x16x32_fp8_fp8 v[148:151], a[34:35], v[218:219], v[148:151]// 0000000042EC: D3F30094 0E53B522
	buffer_load_dwordx4 a[120:123], v36, s[92:95], 0 offen offset:2048// 0000000042F4: E05C1800 80977824
	v_mfma_f32_16x16x32_fp8_fp8 v[148:151], a[36:37], v[220:221], v[148:151]// 0000000042FC: D3F30094 0E53B924
	v_mfma_f32_16x16x32_fp8_fp8 v[148:151], a[38:39], v[222:223], v[148:151]// 000000004304: D3F30094 0E53BD26
	v_mfma_f32_16x16x32_fp8_fp8 v[148:151], a[40:41], v[224:225], v[148:151]// 00000000430C: D3F30094 0E53C128
	v_mfma_f32_16x16x32_fp8_fp8 v[148:151], a[42:43], v[226:227], v[148:151]// 000000004314: D3F30094 0E53C52A
	buffer_load_dwordx4 a[124:127], v36, s[92:95], 0 offen offset:3072// 00000000431C: E05C1C00 80977C24
	v_mfma_f32_16x16x32_fp8_fp8 v[148:151], a[44:45], v[228:229], v[148:151]// 000000004324: D3F30094 0E53C92C
	v_mfma_f32_16x16x32_fp8_fp8 v[148:151], a[46:47], v[230:231], v[148:151]// 00000000432C: D3F30094 0E53CD2E
	s_waitcnt vmcnt(24)                                        // 000000004334: BF8C4F78
	v_mfma_f32_16x16x32_fp8_fp8 v[152:155], a[48:49], v[200:201], v[152:155]// 000000004338: D3F30098 0E639130
	v_mfma_f32_16x16x32_fp8_fp8 v[152:155], a[50:51], v[202:203], v[152:155]// 000000004340: D3F30098 0E639532
	buffer_load_dwordx4 a[128:131], v37, s[92:95], 0 offen     // 000000004348: E05C1000 80978025
	v_mfma_f32_16x16x32_fp8_fp8 v[152:155], a[52:53], v[204:205], v[152:155]// 000000004350: D3F30098 0E639934
	v_mfma_f32_16x16x32_fp8_fp8 v[152:155], a[54:55], v[206:207], v[152:155]// 000000004358: D3F30098 0E639D36
	v_mfma_f32_16x16x32_fp8_fp8 v[152:155], a[56:57], v[208:209], v[152:155]// 000000004360: D3F30098 0E63A138
	v_mfma_f32_16x16x32_fp8_fp8 v[152:155], a[58:59], v[210:211], v[152:155]// 000000004368: D3F30098 0E63A53A
	buffer_load_dwordx4 a[132:135], v37, s[92:95], 0 offen offset:1024// 000000004370: E05C1400 80978425
	v_mfma_f32_16x16x32_fp8_fp8 v[152:155], a[60:61], v[212:213], v[152:155]// 000000004378: D3F30098 0E63A93C
	v_mfma_f32_16x16x32_fp8_fp8 v[152:155], a[62:63], v[214:215], v[152:155]// 000000004380: D3F30098 0E63AD3E
	v_mfma_f32_16x16x32_fp8_fp8 v[156:159], a[48:49], v[216:217], v[156:159]// 000000004388: D3F3009C 0E73B130
	v_mfma_f32_16x16x32_fp8_fp8 v[156:159], a[50:51], v[218:219], v[156:159]// 000000004390: D3F3009C 0E73B532
	buffer_load_dwordx4 a[136:139], v37, s[92:95], 0 offen offset:2048// 000000004398: E05C1800 80978825
	v_mfma_f32_16x16x32_fp8_fp8 v[156:159], a[52:53], v[220:221], v[156:159]// 0000000043A0: D3F3009C 0E73B934
	v_mfma_f32_16x16x32_fp8_fp8 v[156:159], a[54:55], v[222:223], v[156:159]// 0000000043A8: D3F3009C 0E73BD36
	v_mfma_f32_16x16x32_fp8_fp8 v[156:159], a[56:57], v[224:225], v[156:159]// 0000000043B0: D3F3009C 0E73C138
	v_mfma_f32_16x16x32_fp8_fp8 v[156:159], a[58:59], v[226:227], v[156:159]// 0000000043B8: D3F3009C 0E73C53A
	buffer_load_dwordx4 a[140:143], v37, s[92:95], 0 offen offset:3072// 0000000043C0: E05C1C00 80978C25
	v_mfma_f32_16x16x32_fp8_fp8 v[156:159], a[60:61], v[228:229], v[156:159]// 0000000043C8: D3F3009C 0E73C93C
	v_mfma_f32_16x16x32_fp8_fp8 v[156:159], a[62:63], v[230:231], v[156:159]// 0000000043D0: D3F3009C 0E73CD3E
	s_waitcnt vmcnt(24)                                        // 0000000043D8: BF8C4F78
	v_mfma_f32_16x16x32_fp8_fp8 v[160:163], a[64:65], v[200:201], v[160:163]// 0000000043DC: D3F300A0 0E839140
	v_mfma_f32_16x16x32_fp8_fp8 v[160:163], a[66:67], v[202:203], v[160:163]// 0000000043E4: D3F300A0 0E839542
	buffer_load_dwordx4 a[144:147], v38, s[92:95], 0 offen     // 0000000043EC: E05C1000 80979026
	v_mfma_f32_16x16x32_fp8_fp8 v[160:163], a[68:69], v[204:205], v[160:163]// 0000000043F4: D3F300A0 0E839944
	v_mfma_f32_16x16x32_fp8_fp8 v[160:163], a[70:71], v[206:207], v[160:163]// 0000000043FC: D3F300A0 0E839D46
	v_mfma_f32_16x16x32_fp8_fp8 v[160:163], a[72:73], v[208:209], v[160:163]// 000000004404: D3F300A0 0E83A148
	v_mfma_f32_16x16x32_fp8_fp8 v[160:163], a[74:75], v[210:211], v[160:163]// 00000000440C: D3F300A0 0E83A54A
	buffer_load_dwordx4 a[148:151], v38, s[92:95], 0 offen offset:1024// 000000004414: E05C1400 80979426
	v_mfma_f32_16x16x32_fp8_fp8 v[160:163], a[76:77], v[212:213], v[160:163]// 00000000441C: D3F300A0 0E83A94C
	v_mfma_f32_16x16x32_fp8_fp8 v[160:163], a[78:79], v[214:215], v[160:163]// 000000004424: D3F300A0 0E83AD4E
	v_mfma_f32_16x16x32_fp8_fp8 v[164:167], a[64:65], v[216:217], v[164:167]// 00000000442C: D3F300A4 0E93B140
	v_mfma_f32_16x16x32_fp8_fp8 v[164:167], a[66:67], v[218:219], v[164:167]// 000000004434: D3F300A4 0E93B542
	buffer_load_dwordx4 a[152:155], v38, s[92:95], 0 offen offset:2048// 00000000443C: E05C1800 80979826
	v_mfma_f32_16x16x32_fp8_fp8 v[164:167], a[68:69], v[220:221], v[164:167]// 000000004444: D3F300A4 0E93B944
	v_mfma_f32_16x16x32_fp8_fp8 v[164:167], a[70:71], v[222:223], v[164:167]// 00000000444C: D3F300A4 0E93BD46
	v_mfma_f32_16x16x32_fp8_fp8 v[164:167], a[72:73], v[224:225], v[164:167]// 000000004454: D3F300A4 0E93C148
	v_mfma_f32_16x16x32_fp8_fp8 v[164:167], a[74:75], v[226:227], v[164:167]// 00000000445C: D3F300A4 0E93C54A
	buffer_load_dwordx4 a[156:159], v38, s[92:95], 0 offen offset:3072// 000000004464: E05C1C00 80979C26
	v_mfma_f32_16x16x32_fp8_fp8 v[164:167], a[76:77], v[228:229], v[164:167]// 00000000446C: D3F300A4 0E93C94C
	v_mfma_f32_16x16x32_fp8_fp8 v[164:167], a[78:79], v[230:231], v[164:167]// 000000004474: D3F300A4 0E93CD4E
	s_waitcnt vmcnt(12)                                        // 00000000447C: BF8C0F7C
	s_barrier                                                  // 000000004480: BF8A0000
	v_mfma_f32_16x16x32_fp8_fp8 v[64:67], a[80:81], v[200:201], v[64:67]// 000000004484: D3F30040 0D039150
	v_mfma_f32_16x16x32_fp8_fp8 v[64:67], a[82:83], v[202:203], v[64:67]// 00000000448C: D3F30040 0D039552
	buffer_load_dwordx4 a[0:3], v34, s[24:27], 0 offen         // 000000004494: E05C1000 80860022
	v_mfma_f32_16x16x32_fp8_fp8 v[64:67], a[84:85], v[204:205], v[64:67]// 00000000449C: D3F30040 0D039954
	v_mfma_f32_16x16x32_fp8_fp8 v[64:67], a[86:87], v[206:207], v[64:67]// 0000000044A4: D3F30040 0D039D56
	v_mfma_f32_16x16x32_fp8_fp8 v[64:67], a[88:89], v[208:209], v[64:67]// 0000000044AC: D3F30040 0D03A158
	v_mfma_f32_16x16x32_fp8_fp8 v[64:67], a[90:91], v[210:211], v[64:67]// 0000000044B4: D3F30040 0D03A55A
	buffer_load_dwordx4 a[4:7], v34, s[24:27], 0 offen offset:1024// 0000000044BC: E05C1400 80860422
	v_mfma_f32_16x16x32_fp8_fp8 v[64:67], a[92:93], v[212:213], v[64:67]// 0000000044C4: D3F30040 0D03A95C
	v_mfma_f32_16x16x32_fp8_fp8 v[64:67], a[94:95], v[214:215], v[64:67]// 0000000044CC: D3F30040 0D03AD5E
	v_mfma_f32_16x16x32_fp8_fp8 v[68:71], a[80:81], v[216:217], v[68:71]// 0000000044D4: D3F30044 0D13B150
	v_mfma_f32_16x16x32_fp8_fp8 v[68:71], a[82:83], v[218:219], v[68:71]// 0000000044DC: D3F30044 0D13B552
	buffer_load_dwordx4 a[8:11], v34, s[24:27], 0 offen offset:2048// 0000000044E4: E05C1800 80860822
	v_mfma_f32_16x16x32_fp8_fp8 v[68:71], a[84:85], v[220:221], v[68:71]// 0000000044EC: D3F30044 0D13B954
	v_mfma_f32_16x16x32_fp8_fp8 v[68:71], a[86:87], v[222:223], v[68:71]// 0000000044F4: D3F30044 0D13BD56
	v_mfma_f32_16x16x32_fp8_fp8 v[68:71], a[88:89], v[224:225], v[68:71]// 0000000044FC: D3F30044 0D13C158
	v_mfma_f32_16x16x32_fp8_fp8 v[68:71], a[90:91], v[226:227], v[68:71]// 000000004504: D3F30044 0D13C55A
	buffer_load_dwordx4 a[12:15], v34, s[24:27], 0 offen offset:3072// 00000000450C: E05C1C00 80860C22
	v_mfma_f32_16x16x32_fp8_fp8 v[68:71], a[92:93], v[228:229], v[68:71]// 000000004514: D3F30044 0D13C95C
	v_mfma_f32_16x16x32_fp8_fp8 v[68:71], a[94:95], v[230:231], v[68:71]// 00000000451C: D3F30044 0D13CD5E
	v_mfma_f32_16x16x32_fp8_fp8 v[72:75], a[96:97], v[200:201], v[72:75]// 000000004524: D3F30048 0D239160
	v_mfma_f32_16x16x32_fp8_fp8 v[72:75], a[98:99], v[202:203], v[72:75]// 00000000452C: D3F30048 0D239562
	buffer_load_dwordx4 a[16:19], v35, s[24:27], 0 offen       // 000000004534: E05C1000 80861023
	v_mfma_f32_16x16x32_fp8_fp8 v[72:75], a[100:101], v[204:205], v[72:75]// 00000000453C: D3F30048 0D239964
	v_mfma_f32_16x16x32_fp8_fp8 v[72:75], a[102:103], v[206:207], v[72:75]// 000000004544: D3F30048 0D239D66
	v_mfma_f32_16x16x32_fp8_fp8 v[72:75], a[104:105], v[208:209], v[72:75]// 00000000454C: D3F30048 0D23A168
	v_mfma_f32_16x16x32_fp8_fp8 v[72:75], a[106:107], v[210:211], v[72:75]// 000000004554: D3F30048 0D23A56A
	buffer_load_dwordx4 a[20:23], v35, s[24:27], 0 offen offset:1024// 00000000455C: E05C1400 80861423
	v_mfma_f32_16x16x32_fp8_fp8 v[72:75], a[108:109], v[212:213], v[72:75]// 000000004564: D3F30048 0D23A96C
	v_mfma_f32_16x16x32_fp8_fp8 v[72:75], a[110:111], v[214:215], v[72:75]// 00000000456C: D3F30048 0D23AD6E
	v_mfma_f32_16x16x32_fp8_fp8 v[76:79], a[96:97], v[216:217], v[76:79]// 000000004574: D3F3004C 0D33B160
	v_mfma_f32_16x16x32_fp8_fp8 v[76:79], a[98:99], v[218:219], v[76:79]// 00000000457C: D3F3004C 0D33B562
	buffer_load_dwordx4 a[24:27], v35, s[24:27], 0 offen offset:2048// 000000004584: E05C1800 80861823
	v_mfma_f32_16x16x32_fp8_fp8 v[76:79], a[100:101], v[220:221], v[76:79]// 00000000458C: D3F3004C 0D33B964
	v_mfma_f32_16x16x32_fp8_fp8 v[76:79], a[102:103], v[222:223], v[76:79]// 000000004594: D3F3004C 0D33BD66
	v_mfma_f32_16x16x32_fp8_fp8 v[76:79], a[104:105], v[224:225], v[76:79]// 00000000459C: D3F3004C 0D33C168
	v_mfma_f32_16x16x32_fp8_fp8 v[76:79], a[106:107], v[226:227], v[76:79]// 0000000045A4: D3F3004C 0D33C56A
	buffer_load_dwordx4 a[28:31], v35, s[24:27], 0 offen offset:3072// 0000000045AC: E05C1C00 80861C23
	v_mfma_f32_16x16x32_fp8_fp8 v[76:79], a[108:109], v[228:229], v[76:79]// 0000000045B4: D3F3004C 0D33C96C
	v_mfma_f32_16x16x32_fp8_fp8 v[76:79], a[110:111], v[230:231], v[76:79]// 0000000045BC: D3F3004C 0D33CD6E
	s_waitcnt vmcnt(16)                                        // 0000000045C4: BF8C4F70
	v_mfma_f32_16x16x32_fp8_fp8 v[80:83], a[112:113], v[200:201], v[80:83]// 0000000045C8: D3F30050 0D439170
	v_mfma_f32_16x16x32_fp8_fp8 v[80:83], a[114:115], v[202:203], v[80:83]// 0000000045D0: D3F30050 0D439572
	buffer_load_dwordx4 a[32:35], v36, s[24:27], 0 offen       // 0000000045D8: E05C1000 80862024
	v_mfma_f32_16x16x32_fp8_fp8 v[80:83], a[116:117], v[204:205], v[80:83]// 0000000045E0: D3F30050 0D439974
	v_mfma_f32_16x16x32_fp8_fp8 v[80:83], a[118:119], v[206:207], v[80:83]// 0000000045E8: D3F30050 0D439D76
	ds_read_b128 v[168:171], v2                                // 0000000045F0: D9FE0000 A8000002
	v_mfma_f32_16x16x32_fp8_fp8 v[80:83], a[120:121], v[208:209], v[80:83]// 0000000045F8: D3F30050 0D43A178
	v_mfma_f32_16x16x32_fp8_fp8 v[80:83], a[122:123], v[210:211], v[80:83]// 000000004600: D3F30050 0D43A57A
	buffer_load_dwordx4 a[36:39], v36, s[24:27], 0 offen offset:1024// 000000004608: E05C1400 80862424
	v_mfma_f32_16x16x32_fp8_fp8 v[80:83], a[124:125], v[212:213], v[80:83]// 000000004610: D3F30050 0D43A97C
	v_mfma_f32_16x16x32_fp8_fp8 v[80:83], a[126:127], v[214:215], v[80:83]// 000000004618: D3F30050 0D43AD7E
	ds_read_b128 v[172:175], v2 offset:64                      // 000000004620: D9FE0040 AC000002
	v_mfma_f32_16x16x32_fp8_fp8 v[84:87], a[112:113], v[216:217], v[84:87]// 000000004628: D3F30054 0D53B170
	v_mfma_f32_16x16x32_fp8_fp8 v[84:87], a[114:115], v[218:219], v[84:87]// 000000004630: D3F30054 0D53B572
	buffer_load_dwordx4 a[40:43], v36, s[24:27], 0 offen offset:2048// 000000004638: E05C1800 80862824
	v_mfma_f32_16x16x32_fp8_fp8 v[84:87], a[116:117], v[220:221], v[84:87]// 000000004640: D3F30054 0D53B974
	v_mfma_f32_16x16x32_fp8_fp8 v[84:87], a[118:119], v[222:223], v[84:87]// 000000004648: D3F30054 0D53BD76
	ds_read_b128 v[176:179], v2 offset:128                     // 000000004650: D9FE0080 B0000002
	v_mfma_f32_16x16x32_fp8_fp8 v[84:87], a[120:121], v[224:225], v[84:87]// 000000004658: D3F30054 0D53C178
	v_mfma_f32_16x16x32_fp8_fp8 v[84:87], a[122:123], v[226:227], v[84:87]// 000000004660: D3F30054 0D53C57A
	buffer_load_dwordx4 a[44:47], v36, s[24:27], 0 offen offset:3072// 000000004668: E05C1C00 80862C24
	v_mfma_f32_16x16x32_fp8_fp8 v[84:87], a[124:125], v[228:229], v[84:87]// 000000004670: D3F30054 0D53C97C
	v_mfma_f32_16x16x32_fp8_fp8 v[84:87], a[126:127], v[230:231], v[84:87]// 000000004678: D3F30054 0D53CD7E
	ds_read_b128 v[180:183], v2 offset:192                     // 000000004680: D9FE00C0 B4000002
	s_waitcnt vmcnt(16)                                        // 000000004688: BF8C4F70
	v_mfma_f32_16x16x32_fp8_fp8 v[88:91], a[128:129], v[200:201], v[88:91]// 00000000468C: D3F30058 0D639180
	v_mfma_f32_16x16x32_fp8_fp8 v[88:91], a[130:131], v[202:203], v[88:91]// 000000004694: D3F30058 0D639582
	buffer_load_dwordx4 a[48:51], v37, s[24:27], 0 offen       // 00000000469C: E05C1000 80863025
	v_mfma_f32_16x16x32_fp8_fp8 v[88:91], a[132:133], v[204:205], v[88:91]// 0000000046A4: D3F30058 0D639984
	v_mfma_f32_16x16x32_fp8_fp8 v[88:91], a[134:135], v[206:207], v[88:91]// 0000000046AC: D3F30058 0D639D86
	ds_read_b128 v[184:187], v2 offset:1024                    // 0000000046B4: D9FE0400 B8000002
	v_mfma_f32_16x16x32_fp8_fp8 v[88:91], a[136:137], v[208:209], v[88:91]// 0000000046BC: D3F30058 0D63A188
	v_mfma_f32_16x16x32_fp8_fp8 v[88:91], a[138:139], v[210:211], v[88:91]// 0000000046C4: D3F30058 0D63A58A
	buffer_load_dwordx4 a[52:55], v37, s[24:27], 0 offen offset:1024// 0000000046CC: E05C1400 80863425
	v_mfma_f32_16x16x32_fp8_fp8 v[88:91], a[140:141], v[212:213], v[88:91]// 0000000046D4: D3F30058 0D63A98C
	v_mfma_f32_16x16x32_fp8_fp8 v[88:91], a[142:143], v[214:215], v[88:91]// 0000000046DC: D3F30058 0D63AD8E
	ds_read_b128 v[188:191], v2 offset:1088                    // 0000000046E4: D9FE0440 BC000002
	v_mfma_f32_16x16x32_fp8_fp8 v[92:95], a[128:129], v[216:217], v[92:95]// 0000000046EC: D3F3005C 0D73B180
	v_mfma_f32_16x16x32_fp8_fp8 v[92:95], a[130:131], v[218:219], v[92:95]// 0000000046F4: D3F3005C 0D73B582
	buffer_load_dwordx4 a[56:59], v37, s[24:27], 0 offen offset:2048// 0000000046FC: E05C1800 80863825
	v_mfma_f32_16x16x32_fp8_fp8 v[92:95], a[132:133], v[220:221], v[92:95]// 000000004704: D3F3005C 0D73B984
	v_mfma_f32_16x16x32_fp8_fp8 v[92:95], a[134:135], v[222:223], v[92:95]// 00000000470C: D3F3005C 0D73BD86
	ds_read_b128 v[192:195], v2 offset:1152                    // 000000004714: D9FE0480 C0000002
	v_mfma_f32_16x16x32_fp8_fp8 v[92:95], a[136:137], v[224:225], v[92:95]// 00000000471C: D3F3005C 0D73C188
	v_mfma_f32_16x16x32_fp8_fp8 v[92:95], a[138:139], v[226:227], v[92:95]// 000000004724: D3F3005C 0D73C58A
	buffer_load_dwordx4 a[60:63], v37, s[24:27], 0 offen offset:3072// 00000000472C: E05C1C00 80863C25
	v_mfma_f32_16x16x32_fp8_fp8 v[92:95], a[140:141], v[228:229], v[92:95]// 000000004734: D3F3005C 0D73C98C
	v_mfma_f32_16x16x32_fp8_fp8 v[92:95], a[142:143], v[230:231], v[92:95]// 00000000473C: D3F3005C 0D73CD8E
	ds_read_b128 v[196:199], v2 offset:1216                    // 000000004744: D9FE04C0 C4000002
	s_waitcnt vmcnt(16)                                        // 00000000474C: BF8C4F70
	v_mfma_f32_16x16x32_fp8_fp8 v[96:99], a[144:145], v[200:201], v[96:99]// 000000004750: D3F30060 0D839190
	v_mfma_f32_16x16x32_fp8_fp8 v[96:99], a[146:147], v[202:203], v[96:99]// 000000004758: D3F30060 0D839592
	buffer_load_dwordx4 a[64:67], v38, s[24:27], 0 offen       // 000000004760: E05C1000 80864026
	v_mfma_f32_16x16x32_fp8_fp8 v[96:99], a[148:149], v[204:205], v[96:99]// 000000004768: D3F30060 0D839994
	v_mfma_f32_16x16x32_fp8_fp8 v[96:99], a[150:151], v[206:207], v[96:99]// 000000004770: D3F30060 0D839D96
	v_mfma_f32_16x16x32_fp8_fp8 v[96:99], a[152:153], v[208:209], v[96:99]// 000000004778: D3F30060 0D83A198
	v_mfma_f32_16x16x32_fp8_fp8 v[96:99], a[154:155], v[210:211], v[96:99]// 000000004780: D3F30060 0D83A59A
	buffer_load_dwordx4 a[68:71], v38, s[24:27], 0 offen offset:1024// 000000004788: E05C1400 80864426
	v_mfma_f32_16x16x32_fp8_fp8 v[96:99], a[156:157], v[212:213], v[96:99]// 000000004790: D3F30060 0D83A99C
	v_mfma_f32_16x16x32_fp8_fp8 v[96:99], a[158:159], v[214:215], v[96:99]// 000000004798: D3F30060 0D83AD9E
	v_mfma_f32_16x16x32_fp8_fp8 v[100:103], a[144:145], v[216:217], v[100:103]// 0000000047A0: D3F30064 0D93B190
	v_mfma_f32_16x16x32_fp8_fp8 v[100:103], a[146:147], v[218:219], v[100:103]// 0000000047A8: D3F30064 0D93B592
	buffer_load_dwordx4 a[72:75], v38, s[24:27], 0 offen offset:2048// 0000000047B0: E05C1800 80864826
	v_mfma_f32_16x16x32_fp8_fp8 v[100:103], a[148:149], v[220:221], v[100:103]// 0000000047B8: D3F30064 0D93B994
	v_mfma_f32_16x16x32_fp8_fp8 v[100:103], a[150:151], v[222:223], v[100:103]// 0000000047C0: D3F30064 0D93BD96
	v_mfma_f32_16x16x32_fp8_fp8 v[100:103], a[152:153], v[224:225], v[100:103]// 0000000047C8: D3F30064 0D93C198
	v_mfma_f32_16x16x32_fp8_fp8 v[100:103], a[154:155], v[226:227], v[100:103]// 0000000047D0: D3F30064 0D93C59A
	buffer_load_dwordx4 a[76:79], v38, s[24:27], 0 offen offset:3072// 0000000047D8: E05C1C00 80864C26
	v_mfma_f32_16x16x32_fp8_fp8 v[100:103], a[156:157], v[228:229], v[100:103]// 0000000047E0: D3F30064 0D93C99C
	v_mfma_f32_16x16x32_fp8_fp8 v[100:103], a[158:159], v[230:231], v[100:103]// 0000000047E8: D3F30064 0D93CD9E
	s_add_u32 s60, 0x200, s80                                  // 0000000047F0: 803C50FF 00000200
	s_cmp_lt_u32 s60, s81                                      // 0000000047F8: BF0A513C
	s_cselect_b32 s57, s57, 0                                  // 0000000047FC: 85398039
	s_add_u32 s60, 0x200, s80                                  // 000000004800: 803C50FF 00000200
	s_cmp_lt_u32 s60, s81                                      // 000000004808: BF0A513C
	s_cselect_b32 s58, s58, 0                                  // 00000000480C: 853A803A
	s_add_u32 s20, s57, s20                                    // 000000004810: 80141439
	s_addc_u32 s21, 0, s21                                     // 000000004814: 82151580
	s_add_u32 s24, s58, s24                                    // 000000004818: 8018183A
	s_addc_u32 s25, 0, s25                                     // 00000000481C: 82191980
	s_add_u32 s92, s90, s92                                    // 000000004820: 805C5C5A
	s_addc_u32 s93, 0, s93                                     // 000000004824: 825D5D80
	s_addk_i32 s80, 0x100                                      // 000000004828: B7500100
	s_cmp_lt_i32 s80, s81                                      // 00000000482C: BF045150
	s_cbranch_scc0 label_068E                                  // 000000004830: BF840001
	s_branch label_02D9                                        // 000000004834: BF82FC4B

0000000000004838 <label_068E>:
	s_mov_b32 s36, -1                                          // 000000004838: BEA400C1
	s_mov_b32 s37, -1                                          // 00000000483C: BEA500C1
	s_mov_b64 s[60:61], 0                                      // 000000004840: BEBC0180
	s_cmp_lt_u32 s82, s66                                      // 000000004844: BF0A4252
	s_cselect_b64 s[20:21], s[36:37], s[60:61]                 // 000000004848: 85943C24
	s_cmp_lt_u32 s83, s66                                      // 00000000484C: BF0A4253
	s_cselect_b64 s[22:23], s[36:37], s[60:61]                 // 000000004850: 85963C24
	s_cmp_lt_u32 s84, s66                                      // 000000004854: BF0A4254
	s_cselect_b64 s[24:25], s[36:37], s[60:61]                 // 000000004858: 85983C24
	s_cmp_lt_u32 s85, s66                                      // 00000000485C: BF0A4255
	s_cselect_b64 s[26:27], s[36:37], s[60:61]                 // 000000004860: 859A3C24
	s_cmp_lt_u32 s86, s66                                      // 000000004864: BF0A4256
	s_cselect_b64 s[28:29], s[36:37], s[60:61]                 // 000000004868: 859C3C24
	s_cmp_lt_u32 s87, s66                                      // 00000000486C: BF0A4257
	s_cselect_b64 s[30:31], s[36:37], s[60:61]                 // 000000004870: 859E3C24
	s_cmp_lt_u32 s88, s66                                      // 000000004874: BF0A4258
	s_cselect_b64 s[32:33], s[36:37], s[60:61]                 // 000000004878: 85A03C24
	s_cmp_lt_u32 s89, s66                                      // 00000000487C: BF0A4259
	s_cselect_b64 s[34:35], s[36:37], s[60:61]                 // 000000004880: 85A23C24
	v_mul_f32_e32 v128, v14, v128                              // 000000004884: 0B01010E
	v_mul_f32_e32 v129, v14, v129                              // 000000004888: 0B03030E
	v_mul_f32_e32 v130, v14, v130                              // 00000000488C: 0B05050E
	v_mul_f32_e32 v131, v14, v131                              // 000000004890: 0B07070E
	v_mul_f32_dpp v128, v16, v128 row_newbcast:0 row_mask:0xf bank_mask:0xf// 000000004894: 0B0100FA FF015010
	v_mul_f32_dpp v129, v16, v129 row_newbcast:1 row_mask:0xf bank_mask:0xf// 00000000489C: 0B0302FA FF015110
	v_mul_f32_dpp v130, v16, v130 row_newbcast:2 row_mask:0xf bank_mask:0xf// 0000000048A4: 0B0504FA FF015210
	v_mul_f32_dpp v131, v16, v131 row_newbcast:3 row_mask:0xf bank_mask:0xf// 0000000048AC: 0B0706FA FF015310
	v_mul_f32_e32 v132, v15, v132                              // 0000000048B4: 0B09090F
	v_mul_f32_e32 v133, v15, v133                              // 0000000048B8: 0B0B0B0F
	v_mul_f32_e32 v134, v15, v134                              // 0000000048BC: 0B0D0D0F
	v_mul_f32_e32 v135, v15, v135                              // 0000000048C0: 0B0F0F0F
	v_mul_f32_dpp v132, v16, v132 row_newbcast:0 row_mask:0xf bank_mask:0xf// 0000000048C4: 0B0908FA FF015010
	v_mul_f32_dpp v133, v16, v133 row_newbcast:1 row_mask:0xf bank_mask:0xf// 0000000048CC: 0B0B0AFA FF015110
	v_mul_f32_dpp v134, v16, v134 row_newbcast:2 row_mask:0xf bank_mask:0xf// 0000000048D4: 0B0D0CFA FF015210
	v_mul_f32_dpp v135, v16, v135 row_newbcast:3 row_mask:0xf bank_mask:0xf// 0000000048DC: 0B0F0EFA FF015310
	v_mul_f32_e32 v136, v14, v136                              // 0000000048E4: 0B11110E
	v_mul_f32_e32 v137, v14, v137                              // 0000000048E8: 0B13130E
	v_mul_f32_e32 v138, v14, v138                              // 0000000048EC: 0B15150E
	v_mul_f32_e32 v139, v14, v139                              // 0000000048F0: 0B17170E
	v_mul_f32_dpp v136, v16, v136 row_newbcast:4 row_mask:0xf bank_mask:0xf// 0000000048F4: 0B1110FA FF015410
	v_mul_f32_dpp v137, v16, v137 row_newbcast:5 row_mask:0xf bank_mask:0xf// 0000000048FC: 0B1312FA FF015510
	v_mul_f32_dpp v138, v16, v138 row_newbcast:6 row_mask:0xf bank_mask:0xf// 000000004904: 0B1514FA FF015610
	v_mul_f32_dpp v139, v16, v139 row_newbcast:7 row_mask:0xf bank_mask:0xf// 00000000490C: 0B1716FA FF015710
	v_mul_f32_e32 v140, v15, v140                              // 000000004914: 0B19190F
	v_mul_f32_e32 v141, v15, v141                              // 000000004918: 0B1B1B0F
	v_mul_f32_e32 v142, v15, v142                              // 00000000491C: 0B1D1D0F
	v_mul_f32_e32 v143, v15, v143                              // 000000004920: 0B1F1F0F
	v_mul_f32_dpp v140, v16, v140 row_newbcast:4 row_mask:0xf bank_mask:0xf// 000000004924: 0B1918FA FF015410
	v_mul_f32_dpp v141, v16, v141 row_newbcast:5 row_mask:0xf bank_mask:0xf// 00000000492C: 0B1B1AFA FF015510
	v_mul_f32_dpp v142, v16, v142 row_newbcast:6 row_mask:0xf bank_mask:0xf// 000000004934: 0B1D1CFA FF015610
	v_mul_f32_dpp v143, v16, v143 row_newbcast:7 row_mask:0xf bank_mask:0xf// 00000000493C: 0B1F1EFA FF015710
	v_mul_f32_e32 v144, v14, v144                              // 000000004944: 0B21210E
	v_mul_f32_e32 v145, v14, v145                              // 000000004948: 0B23230E
	v_mul_f32_e32 v146, v14, v146                              // 00000000494C: 0B25250E
	v_mul_f32_e32 v147, v14, v147                              // 000000004950: 0B27270E
	v_mul_f32_dpp v144, v16, v144 row_newbcast:8 row_mask:0xf bank_mask:0xf// 000000004954: 0B2120FA FF015810
	v_mul_f32_dpp v145, v16, v145 row_newbcast:9 row_mask:0xf bank_mask:0xf// 00000000495C: 0B2322FA FF015910
	v_mul_f32_dpp v146, v16, v146 row_newbcast:10 row_mask:0xf bank_mask:0xf// 000000004964: 0B2524FA FF015A10
	v_mul_f32_dpp v147, v16, v147 row_newbcast:11 row_mask:0xf bank_mask:0xf// 00000000496C: 0B2726FA FF015B10
	v_mul_f32_e32 v148, v15, v148                              // 000000004974: 0B29290F
	v_mul_f32_e32 v149, v15, v149                              // 000000004978: 0B2B2B0F
	v_mul_f32_e32 v150, v15, v150                              // 00000000497C: 0B2D2D0F
	v_mul_f32_e32 v151, v15, v151                              // 000000004980: 0B2F2F0F
	v_mul_f32_dpp v148, v16, v148 row_newbcast:8 row_mask:0xf bank_mask:0xf// 000000004984: 0B2928FA FF015810
	v_mul_f32_dpp v149, v16, v149 row_newbcast:9 row_mask:0xf bank_mask:0xf// 00000000498C: 0B2B2AFA FF015910
	v_mul_f32_dpp v150, v16, v150 row_newbcast:10 row_mask:0xf bank_mask:0xf// 000000004994: 0B2D2CFA FF015A10
	v_mul_f32_dpp v151, v16, v151 row_newbcast:11 row_mask:0xf bank_mask:0xf// 00000000499C: 0B2F2EFA FF015B10
	v_mul_f32_e32 v152, v14, v152                              // 0000000049A4: 0B31310E
	v_mul_f32_e32 v153, v14, v153                              // 0000000049A8: 0B33330E
	v_mul_f32_e32 v154, v14, v154                              // 0000000049AC: 0B35350E
	v_mul_f32_e32 v155, v14, v155                              // 0000000049B0: 0B37370E
	v_mul_f32_dpp v152, v16, v152 row_newbcast:12 row_mask:0xf bank_mask:0xf// 0000000049B4: 0B3130FA FF015C10
	v_mul_f32_dpp v153, v16, v153 row_newbcast:13 row_mask:0xf bank_mask:0xf// 0000000049BC: 0B3332FA FF015D10
	v_mul_f32_dpp v154, v16, v154 row_newbcast:14 row_mask:0xf bank_mask:0xf// 0000000049C4: 0B3534FA FF015E10
	v_mul_f32_dpp v155, v16, v155 row_newbcast:15 row_mask:0xf bank_mask:0xf// 0000000049CC: 0B3736FA FF015F10
	v_mul_f32_e32 v156, v15, v156                              // 0000000049D4: 0B39390F
	v_mul_f32_e32 v157, v15, v157                              // 0000000049D8: 0B3B3B0F
	v_mul_f32_e32 v158, v15, v158                              // 0000000049DC: 0B3D3D0F
	v_mul_f32_e32 v159, v15, v159                              // 0000000049E0: 0B3F3F0F
	v_mul_f32_dpp v156, v16, v156 row_newbcast:12 row_mask:0xf bank_mask:0xf// 0000000049E4: 0B3938FA FF015C10
	v_mul_f32_dpp v157, v16, v157 row_newbcast:13 row_mask:0xf bank_mask:0xf// 0000000049EC: 0B3B3AFA FF015D10
	v_mul_f32_dpp v158, v16, v158 row_newbcast:14 row_mask:0xf bank_mask:0xf// 0000000049F4: 0B3D3CFA FF015E10
	v_mul_f32_dpp v159, v16, v159 row_newbcast:15 row_mask:0xf bank_mask:0xf// 0000000049FC: 0B3F3EFA FF015F10
	v_mul_f32_e32 v160, v14, v160                              // 000000004A04: 0B41410E
	v_mul_f32_e32 v161, v14, v161                              // 000000004A08: 0B43430E
	v_mul_f32_e32 v162, v14, v162                              // 000000004A0C: 0B45450E
	v_mul_f32_e32 v163, v14, v163                              // 000000004A10: 0B47470E
	v_mul_f32_dpp v160, v17, v160 row_newbcast:0 row_mask:0xf bank_mask:0xf// 000000004A14: 0B4140FA FF015011
	v_mul_f32_dpp v161, v17, v161 row_newbcast:1 row_mask:0xf bank_mask:0xf// 000000004A1C: 0B4342FA FF015111
	v_mul_f32_dpp v162, v17, v162 row_newbcast:2 row_mask:0xf bank_mask:0xf// 000000004A24: 0B4544FA FF015211
	v_mul_f32_dpp v163, v17, v163 row_newbcast:3 row_mask:0xf bank_mask:0xf// 000000004A2C: 0B4746FA FF015311
	v_mul_f32_e32 v164, v15, v164                              // 000000004A34: 0B49490F
	v_mul_f32_e32 v165, v15, v165                              // 000000004A38: 0B4B4B0F
	v_mul_f32_e32 v166, v15, v166                              // 000000004A3C: 0B4D4D0F
	v_mul_f32_e32 v167, v15, v167                              // 000000004A40: 0B4F4F0F
	v_mul_f32_dpp v164, v17, v164 row_newbcast:0 row_mask:0xf bank_mask:0xf// 000000004A44: 0B4948FA FF015011
	v_mul_f32_dpp v165, v17, v165 row_newbcast:1 row_mask:0xf bank_mask:0xf// 000000004A4C: 0B4B4AFA FF015111
	v_mul_f32_dpp v166, v17, v166 row_newbcast:2 row_mask:0xf bank_mask:0xf// 000000004A54: 0B4D4CFA FF015211
	v_mul_f32_dpp v167, v17, v167 row_newbcast:3 row_mask:0xf bank_mask:0xf// 000000004A5C: 0B4F4EFA FF015311
	v_mul_f32_e32 v64, v14, v64                                // 000000004A64: 0A80810E
	v_mul_f32_e32 v65, v14, v65                                // 000000004A68: 0A82830E
	v_mul_f32_e32 v66, v14, v66                                // 000000004A6C: 0A84850E
	v_mul_f32_e32 v67, v14, v67                                // 000000004A70: 0A86870E
	v_mul_f32_dpp v64, v47, v64 row_newbcast:0 row_mask:0xf bank_mask:0xf// 000000004A74: 0A8080FA FF01502F
	v_mul_f32_dpp v65, v47, v65 row_newbcast:1 row_mask:0xf bank_mask:0xf// 000000004A7C: 0A8282FA FF01512F
	v_mul_f32_dpp v66, v47, v66 row_newbcast:2 row_mask:0xf bank_mask:0xf// 000000004A84: 0A8484FA FF01522F
	v_mul_f32_dpp v67, v47, v67 row_newbcast:3 row_mask:0xf bank_mask:0xf// 000000004A8C: 0A8686FA FF01532F
	v_mul_f32_e32 v68, v15, v68                                // 000000004A94: 0A88890F
	v_mul_f32_e32 v69, v15, v69                                // 000000004A98: 0A8A8B0F
	v_mul_f32_e32 v70, v15, v70                                // 000000004A9C: 0A8C8D0F
	v_mul_f32_e32 v71, v15, v71                                // 000000004AA0: 0A8E8F0F
	v_mul_f32_dpp v68, v47, v68 row_newbcast:0 row_mask:0xf bank_mask:0xf// 000000004AA4: 0A8888FA FF01502F
	v_mul_f32_dpp v69, v47, v69 row_newbcast:1 row_mask:0xf bank_mask:0xf// 000000004AAC: 0A8A8AFA FF01512F
	v_mul_f32_dpp v70, v47, v70 row_newbcast:2 row_mask:0xf bank_mask:0xf// 000000004AB4: 0A8C8CFA FF01522F
	v_mul_f32_dpp v71, v47, v71 row_newbcast:3 row_mask:0xf bank_mask:0xf// 000000004ABC: 0A8E8EFA FF01532F
	v_mul_f32_e32 v72, v14, v72                                // 000000004AC4: 0A90910E
	v_mul_f32_e32 v73, v14, v73                                // 000000004AC8: 0A92930E
	v_mul_f32_e32 v74, v14, v74                                // 000000004ACC: 0A94950E
	v_mul_f32_e32 v75, v14, v75                                // 000000004AD0: 0A96970E
	v_mul_f32_dpp v72, v47, v72 row_newbcast:4 row_mask:0xf bank_mask:0xf// 000000004AD4: 0A9090FA FF01542F
	v_mul_f32_dpp v73, v47, v73 row_newbcast:5 row_mask:0xf bank_mask:0xf// 000000004ADC: 0A9292FA FF01552F
	v_mul_f32_dpp v74, v47, v74 row_newbcast:6 row_mask:0xf bank_mask:0xf// 000000004AE4: 0A9494FA FF01562F
	v_mul_f32_dpp v75, v47, v75 row_newbcast:7 row_mask:0xf bank_mask:0xf// 000000004AEC: 0A9696FA FF01572F
	v_mul_f32_e32 v76, v15, v76                                // 000000004AF4: 0A98990F
	v_mul_f32_e32 v77, v15, v77                                // 000000004AF8: 0A9A9B0F
	v_mul_f32_e32 v78, v15, v78                                // 000000004AFC: 0A9C9D0F
	v_mul_f32_e32 v79, v15, v79                                // 000000004B00: 0A9E9F0F
	v_mul_f32_dpp v76, v47, v76 row_newbcast:4 row_mask:0xf bank_mask:0xf// 000000004B04: 0A9898FA FF01542F
	v_mul_f32_dpp v77, v47, v77 row_newbcast:5 row_mask:0xf bank_mask:0xf// 000000004B0C: 0A9A9AFA FF01552F
	v_mul_f32_dpp v78, v47, v78 row_newbcast:6 row_mask:0xf bank_mask:0xf// 000000004B14: 0A9C9CFA FF01562F
	v_mul_f32_dpp v79, v47, v79 row_newbcast:7 row_mask:0xf bank_mask:0xf// 000000004B1C: 0A9E9EFA FF01572F
	v_mul_f32_e32 v80, v14, v80                                // 000000004B24: 0AA0A10E
	v_mul_f32_e32 v81, v14, v81                                // 000000004B28: 0AA2A30E
	v_mul_f32_e32 v82, v14, v82                                // 000000004B2C: 0AA4A50E
	v_mul_f32_e32 v83, v14, v83                                // 000000004B30: 0AA6A70E
	v_mul_f32_dpp v80, v47, v80 row_newbcast:8 row_mask:0xf bank_mask:0xf// 000000004B34: 0AA0A0FA FF01582F
	v_mul_f32_dpp v81, v47, v81 row_newbcast:9 row_mask:0xf bank_mask:0xf// 000000004B3C: 0AA2A2FA FF01592F
	v_mul_f32_dpp v82, v47, v82 row_newbcast:10 row_mask:0xf bank_mask:0xf// 000000004B44: 0AA4A4FA FF015A2F
	v_mul_f32_dpp v83, v47, v83 row_newbcast:11 row_mask:0xf bank_mask:0xf// 000000004B4C: 0AA6A6FA FF015B2F
	v_mul_f32_e32 v84, v15, v84                                // 000000004B54: 0AA8A90F
	v_mul_f32_e32 v85, v15, v85                                // 000000004B58: 0AAAAB0F
	v_mul_f32_e32 v86, v15, v86                                // 000000004B5C: 0AACAD0F
	v_mul_f32_e32 v87, v15, v87                                // 000000004B60: 0AAEAF0F
	v_mul_f32_dpp v84, v47, v84 row_newbcast:8 row_mask:0xf bank_mask:0xf// 000000004B64: 0AA8A8FA FF01582F
	v_mul_f32_dpp v85, v47, v85 row_newbcast:9 row_mask:0xf bank_mask:0xf// 000000004B6C: 0AAAAAFA FF01592F
	v_mul_f32_dpp v86, v47, v86 row_newbcast:10 row_mask:0xf bank_mask:0xf// 000000004B74: 0AACACFA FF015A2F
	v_mul_f32_dpp v87, v47, v87 row_newbcast:11 row_mask:0xf bank_mask:0xf// 000000004B7C: 0AAEAEFA FF015B2F
	v_mul_f32_e32 v88, v14, v88                                // 000000004B84: 0AB0B10E
	v_mul_f32_e32 v89, v14, v89                                // 000000004B88: 0AB2B30E
	v_mul_f32_e32 v90, v14, v90                                // 000000004B8C: 0AB4B50E
	v_mul_f32_e32 v91, v14, v91                                // 000000004B90: 0AB6B70E
	v_mul_f32_dpp v88, v47, v88 row_newbcast:12 row_mask:0xf bank_mask:0xf// 000000004B94: 0AB0B0FA FF015C2F
	v_mul_f32_dpp v89, v47, v89 row_newbcast:13 row_mask:0xf bank_mask:0xf// 000000004B9C: 0AB2B2FA FF015D2F
	v_mul_f32_dpp v90, v47, v90 row_newbcast:14 row_mask:0xf bank_mask:0xf// 000000004BA4: 0AB4B4FA FF015E2F
	v_mul_f32_dpp v91, v47, v91 row_newbcast:15 row_mask:0xf bank_mask:0xf// 000000004BAC: 0AB6B6FA FF015F2F
	v_mul_f32_e32 v92, v15, v92                                // 000000004BB4: 0AB8B90F
	v_mul_f32_e32 v93, v15, v93                                // 000000004BB8: 0ABABB0F
	v_mul_f32_e32 v94, v15, v94                                // 000000004BBC: 0ABCBD0F
	v_mul_f32_e32 v95, v15, v95                                // 000000004BC0: 0ABEBF0F
	v_mul_f32_dpp v92, v47, v92 row_newbcast:12 row_mask:0xf bank_mask:0xf// 000000004BC4: 0AB8B8FA FF015C2F
	v_mul_f32_dpp v93, v47, v93 row_newbcast:13 row_mask:0xf bank_mask:0xf// 000000004BCC: 0ABABAFA FF015D2F
	v_mul_f32_dpp v94, v47, v94 row_newbcast:14 row_mask:0xf bank_mask:0xf// 000000004BD4: 0ABCBCFA FF015E2F
	v_mul_f32_dpp v95, v47, v95 row_newbcast:15 row_mask:0xf bank_mask:0xf// 000000004BDC: 0ABEBEFA FF015F2F
	v_mul_f32_e32 v96, v14, v96                                // 000000004BE4: 0AC0C10E
	v_mul_f32_e32 v97, v14, v97                                // 000000004BE8: 0AC2C30E
	v_mul_f32_e32 v98, v14, v98                                // 000000004BEC: 0AC4C50E
	v_mul_f32_e32 v99, v14, v99                                // 000000004BF0: 0AC6C70E
	v_mul_f32_dpp v96, v48, v96 row_newbcast:0 row_mask:0xf bank_mask:0xf// 000000004BF4: 0AC0C0FA FF015030
	v_mul_f32_dpp v97, v48, v97 row_newbcast:1 row_mask:0xf bank_mask:0xf// 000000004BFC: 0AC2C2FA FF015130
	v_mul_f32_dpp v98, v48, v98 row_newbcast:2 row_mask:0xf bank_mask:0xf// 000000004C04: 0AC4C4FA FF015230
	v_mul_f32_dpp v99, v48, v99 row_newbcast:3 row_mask:0xf bank_mask:0xf// 000000004C0C: 0AC6C6FA FF015330
	v_mul_f32_e32 v100, v15, v100                              // 000000004C14: 0AC8C90F
	v_mul_f32_e32 v101, v15, v101                              // 000000004C18: 0ACACB0F
	v_mul_f32_e32 v102, v15, v102                              // 000000004C1C: 0ACCCD0F
	v_mul_f32_e32 v103, v15, v103                              // 000000004C20: 0ACECF0F
	v_mul_f32_dpp v100, v48, v100 row_newbcast:0 row_mask:0xf bank_mask:0xf// 000000004C24: 0AC8C8FA FF015030
	v_mul_f32_dpp v101, v48, v101 row_newbcast:1 row_mask:0xf bank_mask:0xf// 000000004C2C: 0ACACAFA FF015130
	v_mul_f32_dpp v102, v48, v102 row_newbcast:2 row_mask:0xf bank_mask:0xf// 000000004C34: 0ACCCCFA FF015230
	v_mul_f32_dpp v103, v48, v103 row_newbcast:3 row_mask:0xf bank_mask:0xf// 000000004C3C: 0ACECEFA FF015330
	s_waitcnt vmcnt(16)                                        // 000000004C44: BF8C4F70
	buffer_load_dwordx4 a[0:3], v39, s[12:15], 0 offen         // 000000004C48: E05C1000 80830027
	v_mul_f32_e64 v50, -v128, s6                               // 000000004C50: D1050032 20000D80
	v_mul_f32_e64 v51, -v129, s6                               // 000000004C58: D1050033 20000D81
	v_mul_f32_e64 v52, -v130, s6                               // 000000004C60: D1050034 20000D82
	v_mul_f32_e64 v53, -v131, s6                               // 000000004C68: D1050035 20000D83
	v_exp_f32_e32 v50, v50                                     // 000000004C70: 7E644132
	v_exp_f32_e32 v51, v51                                     // 000000004C74: 7E664133
	v_exp_f32_e32 v52, v52                                     // 000000004C78: 7E684134
	v_exp_f32_e32 v53, v53                                     // 000000004C7C: 7E6A4135
	buffer_load_dwordx4 a[4:7], v40, s[12:15], 0 offen         // 000000004C80: E05C1000 80830428
	v_add_f32_e64 v50, v50, 1.0                                // 000000004C88: D1010032 0001E532
	v_add_f32_e64 v51, v51, 1.0                                // 000000004C90: D1010033 0001E533
	v_add_f32_e64 v52, v52, 1.0                                // 000000004C98: D1010034 0001E534
	v_add_f32_e64 v53, v53, 1.0                                // 000000004CA0: D1010035 0001E535
	v_rcp_f32_e32 v50, v50                                     // 000000004CA8: 7E644532
	v_rcp_f32_e32 v51, v51                                     // 000000004CAC: 7E664533
	v_rcp_f32_e32 v52, v52                                     // 000000004CB0: 7E684534
	v_rcp_f32_e32 v53, v53                                     // 000000004CB4: 7E6A4535
	v_mul_f32_e32 v128, v128, v50                              // 000000004CB8: 0B006580
	v_mul_f32_e32 v129, v129, v51                              // 000000004CBC: 0B026781
	v_mul_f32_e32 v130, v130, v52                              // 000000004CC0: 0B046982
	v_mul_f32_e32 v131, v131, v53                              // 000000004CC4: 0B066B83
	v_mul_f32_e32 v128, v128, v64                              // 000000004CC8: 0B008180
	v_mul_f32_e32 v129, v129, v65                              // 000000004CCC: 0B028381
	v_mul_f32_e32 v130, v130, v66                              // 000000004CD0: 0B048582
	v_mul_f32_e32 v131, v131, v67                              // 000000004CD4: 0B068783
	buffer_load_dwordx4 a[8:11], v41, s[12:15], 0 offen        // 000000004CD8: E05C1000 80830829
	v_mul_f32_e64 v50, -v132, s6                               // 000000004CE0: D1050032 20000D84
	v_mul_f32_e64 v51, -v133, s6                               // 000000004CE8: D1050033 20000D85
	v_mul_f32_e64 v52, -v134, s6                               // 000000004CF0: D1050034 20000D86
	v_mul_f32_e64 v53, -v135, s6                               // 000000004CF8: D1050035 20000D87
	v_exp_f32_e32 v50, v50                                     // 000000004D00: 7E644132
	v_exp_f32_e32 v51, v51                                     // 000000004D04: 7E664133
	v_exp_f32_e32 v52, v52                                     // 000000004D08: 7E684134
	v_exp_f32_e32 v53, v53                                     // 000000004D0C: 7E6A4135
	buffer_load_dwordx4 a[12:15], v42, s[12:15], 0 offen       // 000000004D10: E05C1000 80830C2A
	s_add_u32 s12, s78, s12                                    // 000000004D18: 800C0C4E
	s_addc_u32 s13, 0, s13                                     // 000000004D1C: 820D0D80
	v_add_f32_e64 v50, v50, 1.0                                // 000000004D20: D1010032 0001E532
	v_add_f32_e64 v51, v51, 1.0                                // 000000004D28: D1010033 0001E533
	v_add_f32_e64 v52, v52, 1.0                                // 000000004D30: D1010034 0001E534
	v_add_f32_e64 v53, v53, 1.0                                // 000000004D38: D1010035 0001E535
	v_rcp_f32_e32 v50, v50                                     // 000000004D40: 7E644532
	v_rcp_f32_e32 v51, v51                                     // 000000004D44: 7E664533
	v_rcp_f32_e32 v52, v52                                     // 000000004D48: 7E684534
	v_rcp_f32_e32 v53, v53                                     // 000000004D4C: 7E6A4535
	v_mul_f32_e32 v132, v132, v50                              // 000000004D50: 0B086584
	v_mul_f32_e32 v133, v133, v51                              // 000000004D54: 0B0A6785
	v_mul_f32_e32 v134, v134, v52                              // 000000004D58: 0B0C6986
	v_mul_f32_e32 v135, v135, v53                              // 000000004D5C: 0B0E6B87
	v_mul_f32_e32 v132, v132, v68                              // 000000004D60: 0B088984
	v_mul_f32_e32 v133, v133, v69                              // 000000004D64: 0B0A8B85
	v_mul_f32_e32 v134, v134, v70                              // 000000004D68: 0B0C8D86
	v_mul_f32_e32 v135, v135, v71                              // 000000004D6C: 0B0E8F87
	s_waitcnt vmcnt(16)                                        // 000000004D70: BF8C4F70
	buffer_load_dwordx4 a[16:19], v39, s[12:15], 0 offen       // 000000004D74: E05C1000 80831027
	v_mul_f32_e64 v50, -v136, s6                               // 000000004D7C: D1050032 20000D88
	v_mul_f32_e64 v51, -v137, s6                               // 000000004D84: D1050033 20000D89
	v_mul_f32_e64 v52, -v138, s6                               // 000000004D8C: D1050034 20000D8A
	v_mul_f32_e64 v53, -v139, s6                               // 000000004D94: D1050035 20000D8B
	v_exp_f32_e32 v50, v50                                     // 000000004D9C: 7E644132
	v_exp_f32_e32 v51, v51                                     // 000000004DA0: 7E664133
	v_exp_f32_e32 v52, v52                                     // 000000004DA4: 7E684134
	v_exp_f32_e32 v53, v53                                     // 000000004DA8: 7E6A4135
	buffer_load_dwordx4 a[20:23], v40, s[12:15], 0 offen       // 000000004DAC: E05C1000 80831428
	v_add_f32_e64 v50, v50, 1.0                                // 000000004DB4: D1010032 0001E532
	v_add_f32_e64 v51, v51, 1.0                                // 000000004DBC: D1010033 0001E533
	v_add_f32_e64 v52, v52, 1.0                                // 000000004DC4: D1010034 0001E534
	v_add_f32_e64 v53, v53, 1.0                                // 000000004DCC: D1010035 0001E535
	v_rcp_f32_e32 v50, v50                                     // 000000004DD4: 7E644532
	v_rcp_f32_e32 v51, v51                                     // 000000004DD8: 7E664533
	v_rcp_f32_e32 v52, v52                                     // 000000004DDC: 7E684534
	v_rcp_f32_e32 v53, v53                                     // 000000004DE0: 7E6A4535
	v_mul_f32_e32 v136, v136, v50                              // 000000004DE4: 0B106588
	v_mul_f32_e32 v137, v137, v51                              // 000000004DE8: 0B126789
	v_mul_f32_e32 v138, v138, v52                              // 000000004DEC: 0B14698A
	v_mul_f32_e32 v139, v139, v53                              // 000000004DF0: 0B166B8B
	v_mul_f32_e32 v136, v136, v72                              // 000000004DF4: 0B109188
	v_mul_f32_e32 v137, v137, v73                              // 000000004DF8: 0B129389
	v_mul_f32_e32 v138, v138, v74                              // 000000004DFC: 0B14958A
	v_mul_f32_e32 v139, v139, v75                              // 000000004E00: 0B16978B
	buffer_load_dwordx4 a[24:27], v41, s[12:15], 0 offen       // 000000004E04: E05C1000 80831829
	v_mul_f32_e64 v50, -v140, s6                               // 000000004E0C: D1050032 20000D8C
	v_mul_f32_e64 v51, -v141, s6                               // 000000004E14: D1050033 20000D8D
	v_mul_f32_e64 v52, -v142, s6                               // 000000004E1C: D1050034 20000D8E
	v_mul_f32_e64 v53, -v143, s6                               // 000000004E24: D1050035 20000D8F
	v_exp_f32_e32 v50, v50                                     // 000000004E2C: 7E644132
	v_exp_f32_e32 v51, v51                                     // 000000004E30: 7E664133
	v_exp_f32_e32 v52, v52                                     // 000000004E34: 7E684134
	v_exp_f32_e32 v53, v53                                     // 000000004E38: 7E6A4135
	buffer_load_dwordx4 a[28:31], v42, s[12:15], 0 offen       // 000000004E3C: E05C1000 80831C2A
	s_add_u32 s12, s78, s12                                    // 000000004E44: 800C0C4E
	s_addc_u32 s13, 0, s13                                     // 000000004E48: 820D0D80
	v_add_f32_e64 v50, v50, 1.0                                // 000000004E4C: D1010032 0001E532
	v_add_f32_e64 v51, v51, 1.0                                // 000000004E54: D1010033 0001E533
	v_add_f32_e64 v52, v52, 1.0                                // 000000004E5C: D1010034 0001E534
	v_add_f32_e64 v53, v53, 1.0                                // 000000004E64: D1010035 0001E535
	v_rcp_f32_e32 v50, v50                                     // 000000004E6C: 7E644532
	v_rcp_f32_e32 v51, v51                                     // 000000004E70: 7E664533
	v_rcp_f32_e32 v52, v52                                     // 000000004E74: 7E684534
	v_rcp_f32_e32 v53, v53                                     // 000000004E78: 7E6A4535
	v_mul_f32_e32 v140, v140, v50                              // 000000004E7C: 0B18658C
	v_mul_f32_e32 v141, v141, v51                              // 000000004E80: 0B1A678D
	v_mul_f32_e32 v142, v142, v52                              // 000000004E84: 0B1C698E
	v_mul_f32_e32 v143, v143, v53                              // 000000004E88: 0B1E6B8F
	v_mul_f32_e32 v140, v140, v76                              // 000000004E8C: 0B18998C
	v_mul_f32_e32 v141, v141, v77                              // 000000004E90: 0B1A9B8D
	v_mul_f32_e32 v142, v142, v78                              // 000000004E94: 0B1C9D8E
	v_mul_f32_e32 v143, v143, v79                              // 000000004E98: 0B1E9F8F
	s_waitcnt vmcnt(16)                                        // 000000004E9C: BF8C4F70
	buffer_load_dwordx4 a[32:35], v39, s[12:15], 0 offen       // 000000004EA0: E05C1000 80832027
	v_mul_f32_e64 v50, -v144, s6                               // 000000004EA8: D1050032 20000D90
	v_mul_f32_e64 v51, -v145, s6                               // 000000004EB0: D1050033 20000D91
	v_mul_f32_e64 v52, -v146, s6                               // 000000004EB8: D1050034 20000D92
	v_mul_f32_e64 v53, -v147, s6                               // 000000004EC0: D1050035 20000D93
	v_exp_f32_e32 v50, v50                                     // 000000004EC8: 7E644132
	v_exp_f32_e32 v51, v51                                     // 000000004ECC: 7E664133
	v_exp_f32_e32 v52, v52                                     // 000000004ED0: 7E684134
	v_exp_f32_e32 v53, v53                                     // 000000004ED4: 7E6A4135
	buffer_load_dwordx4 a[36:39], v40, s[12:15], 0 offen       // 000000004ED8: E05C1000 80832428
	v_add_f32_e64 v50, v50, 1.0                                // 000000004EE0: D1010032 0001E532
	v_add_f32_e64 v51, v51, 1.0                                // 000000004EE8: D1010033 0001E533
	v_add_f32_e64 v52, v52, 1.0                                // 000000004EF0: D1010034 0001E534
	v_add_f32_e64 v53, v53, 1.0                                // 000000004EF8: D1010035 0001E535
	v_rcp_f32_e32 v50, v50                                     // 000000004F00: 7E644532
	v_rcp_f32_e32 v51, v51                                     // 000000004F04: 7E664533
	v_rcp_f32_e32 v52, v52                                     // 000000004F08: 7E684534
	v_rcp_f32_e32 v53, v53                                     // 000000004F0C: 7E6A4535
	v_mul_f32_e32 v144, v144, v50                              // 000000004F10: 0B206590
	v_mul_f32_e32 v145, v145, v51                              // 000000004F14: 0B226791
	v_mul_f32_e32 v146, v146, v52                              // 000000004F18: 0B246992
	v_mul_f32_e32 v147, v147, v53                              // 000000004F1C: 0B266B93
	v_mul_f32_e32 v144, v144, v80                              // 000000004F20: 0B20A190
	v_mul_f32_e32 v145, v145, v81                              // 000000004F24: 0B22A391
	v_mul_f32_e32 v146, v146, v82                              // 000000004F28: 0B24A592
	v_mul_f32_e32 v147, v147, v83                              // 000000004F2C: 0B26A793
	buffer_load_dwordx4 a[40:43], v41, s[12:15], 0 offen       // 000000004F30: E05C1000 80832829
	v_mul_f32_e64 v50, -v148, s6                               // 000000004F38: D1050032 20000D94
	v_mul_f32_e64 v51, -v149, s6                               // 000000004F40: D1050033 20000D95
	v_mul_f32_e64 v52, -v150, s6                               // 000000004F48: D1050034 20000D96
	v_mul_f32_e64 v53, -v151, s6                               // 000000004F50: D1050035 20000D97
	v_exp_f32_e32 v50, v50                                     // 000000004F58: 7E644132
	v_exp_f32_e32 v51, v51                                     // 000000004F5C: 7E664133
	v_exp_f32_e32 v52, v52                                     // 000000004F60: 7E684134
	v_exp_f32_e32 v53, v53                                     // 000000004F64: 7E6A4135
	buffer_load_dwordx4 a[44:47], v42, s[12:15], 0 offen       // 000000004F68: E05C1000 80832C2A
	s_add_u32 s12, s78, s12                                    // 000000004F70: 800C0C4E
	s_addc_u32 s13, 0, s13                                     // 000000004F74: 820D0D80
	v_add_f32_e64 v50, v50, 1.0                                // 000000004F78: D1010032 0001E532
	v_add_f32_e64 v51, v51, 1.0                                // 000000004F80: D1010033 0001E533
	v_add_f32_e64 v52, v52, 1.0                                // 000000004F88: D1010034 0001E534
	v_add_f32_e64 v53, v53, 1.0                                // 000000004F90: D1010035 0001E535
	v_rcp_f32_e32 v50, v50                                     // 000000004F98: 7E644532
	v_rcp_f32_e32 v51, v51                                     // 000000004F9C: 7E664533
	v_rcp_f32_e32 v52, v52                                     // 000000004FA0: 7E684534
	v_rcp_f32_e32 v53, v53                                     // 000000004FA4: 7E6A4535
	v_mul_f32_e32 v148, v148, v50                              // 000000004FA8: 0B286594
	v_mul_f32_e32 v149, v149, v51                              // 000000004FAC: 0B2A6795
	v_mul_f32_e32 v150, v150, v52                              // 000000004FB0: 0B2C6996
	v_mul_f32_e32 v151, v151, v53                              // 000000004FB4: 0B2E6B97
	v_mul_f32_e32 v148, v148, v84                              // 000000004FB8: 0B28A994
	v_mul_f32_e32 v149, v149, v85                              // 000000004FBC: 0B2AAB95
	v_mul_f32_e32 v150, v150, v86                              // 000000004FC0: 0B2CAD96
	v_mul_f32_e32 v151, v151, v87                              // 000000004FC4: 0B2EAF97
	s_waitcnt vmcnt(16)                                        // 000000004FC8: BF8C4F70
	buffer_load_dwordx4 a[48:51], v39, s[12:15], 0 offen       // 000000004FCC: E05C1000 80833027
	v_mul_f32_e64 v50, -v152, s6                               // 000000004FD4: D1050032 20000D98
	v_mul_f32_e64 v51, -v153, s6                               // 000000004FDC: D1050033 20000D99
	v_mul_f32_e64 v52, -v154, s6                               // 000000004FE4: D1050034 20000D9A
	v_mul_f32_e64 v53, -v155, s6                               // 000000004FEC: D1050035 20000D9B
	v_exp_f32_e32 v50, v50                                     // 000000004FF4: 7E644132
	v_exp_f32_e32 v51, v51                                     // 000000004FF8: 7E664133
	v_exp_f32_e32 v52, v52                                     // 000000004FFC: 7E684134
	v_exp_f32_e32 v53, v53                                     // 000000005000: 7E6A4135
	buffer_load_dwordx4 a[52:55], v40, s[12:15], 0 offen       // 000000005004: E05C1000 80833428
	v_add_f32_e64 v50, v50, 1.0                                // 00000000500C: D1010032 0001E532
	v_add_f32_e64 v51, v51, 1.0                                // 000000005014: D1010033 0001E533
	v_add_f32_e64 v52, v52, 1.0                                // 00000000501C: D1010034 0001E534
	v_add_f32_e64 v53, v53, 1.0                                // 000000005024: D1010035 0001E535
	v_rcp_f32_e32 v50, v50                                     // 00000000502C: 7E644532
	v_rcp_f32_e32 v51, v51                                     // 000000005030: 7E664533
	v_rcp_f32_e32 v52, v52                                     // 000000005034: 7E684534
	v_rcp_f32_e32 v53, v53                                     // 000000005038: 7E6A4535
	v_mul_f32_e32 v152, v152, v50                              // 00000000503C: 0B306598
	v_mul_f32_e32 v153, v153, v51                              // 000000005040: 0B326799
	v_mul_f32_e32 v154, v154, v52                              // 000000005044: 0B34699A
	v_mul_f32_e32 v155, v155, v53                              // 000000005048: 0B366B9B
	v_mul_f32_e32 v152, v152, v88                              // 00000000504C: 0B30B198
	v_mul_f32_e32 v153, v153, v89                              // 000000005050: 0B32B399
	v_mul_f32_e32 v154, v154, v90                              // 000000005054: 0B34B59A
	v_mul_f32_e32 v155, v155, v91                              // 000000005058: 0B36B79B
	buffer_load_dwordx4 a[56:59], v41, s[12:15], 0 offen       // 00000000505C: E05C1000 80833829
	v_mul_f32_e64 v50, -v156, s6                               // 000000005064: D1050032 20000D9C
	v_mul_f32_e64 v51, -v157, s6                               // 00000000506C: D1050033 20000D9D
	v_mul_f32_e64 v52, -v158, s6                               // 000000005074: D1050034 20000D9E
	v_mul_f32_e64 v53, -v159, s6                               // 00000000507C: D1050035 20000D9F
	v_exp_f32_e32 v50, v50                                     // 000000005084: 7E644132
	v_exp_f32_e32 v51, v51                                     // 000000005088: 7E664133
	v_exp_f32_e32 v52, v52                                     // 00000000508C: 7E684134
	v_exp_f32_e32 v53, v53                                     // 000000005090: 7E6A4135
	buffer_load_dwordx4 a[60:63], v42, s[12:15], 0 offen       // 000000005094: E05C1000 80833C2A
	s_add_u32 s12, s78, s12                                    // 00000000509C: 800C0C4E
	s_addc_u32 s13, 0, s13                                     // 0000000050A0: 820D0D80
	v_add_f32_e64 v50, v50, 1.0                                // 0000000050A4: D1010032 0001E532
	v_add_f32_e64 v51, v51, 1.0                                // 0000000050AC: D1010033 0001E533
	v_add_f32_e64 v52, v52, 1.0                                // 0000000050B4: D1010034 0001E534
	v_add_f32_e64 v53, v53, 1.0                                // 0000000050BC: D1010035 0001E535
	v_rcp_f32_e32 v50, v50                                     // 0000000050C4: 7E644532
	v_rcp_f32_e32 v51, v51                                     // 0000000050C8: 7E664533
	v_rcp_f32_e32 v52, v52                                     // 0000000050CC: 7E684534
	v_rcp_f32_e32 v53, v53                                     // 0000000050D0: 7E6A4535
	v_mul_f32_e32 v156, v156, v50                              // 0000000050D4: 0B38659C
	v_mul_f32_e32 v157, v157, v51                              // 0000000050D8: 0B3A679D
	v_mul_f32_e32 v158, v158, v52                              // 0000000050DC: 0B3C699E
	v_mul_f32_e32 v159, v159, v53                              // 0000000050E0: 0B3E6B9F
	v_mul_f32_e32 v156, v156, v92                              // 0000000050E4: 0B38B99C
	v_mul_f32_e32 v157, v157, v93                              // 0000000050E8: 0B3ABB9D
	v_mul_f32_e32 v158, v158, v94                              // 0000000050EC: 0B3CBD9E
	v_mul_f32_e32 v159, v159, v95                              // 0000000050F0: 0B3EBF9F
	s_waitcnt vmcnt(16)                                        // 0000000050F4: BF8C4F70
	buffer_load_dwordx4 a[64:67], v39, s[12:15], 0 offen       // 0000000050F8: E05C1000 80834027
	v_mul_f32_e64 v50, -v160, s6                               // 000000005100: D1050032 20000DA0
	v_mul_f32_e64 v51, -v161, s6                               // 000000005108: D1050033 20000DA1
	v_mul_f32_e64 v52, -v162, s6                               // 000000005110: D1050034 20000DA2
	v_mul_f32_e64 v53, -v163, s6                               // 000000005118: D1050035 20000DA3
	v_exp_f32_e32 v50, v50                                     // 000000005120: 7E644132
	v_exp_f32_e32 v51, v51                                     // 000000005124: 7E664133
	v_exp_f32_e32 v52, v52                                     // 000000005128: 7E684134
	v_exp_f32_e32 v53, v53                                     // 00000000512C: 7E6A4135
	buffer_load_dwordx4 a[68:71], v40, s[12:15], 0 offen       // 000000005130: E05C1000 80834428
	v_add_f32_e64 v50, v50, 1.0                                // 000000005138: D1010032 0001E532
	v_add_f32_e64 v51, v51, 1.0                                // 000000005140: D1010033 0001E533
	v_add_f32_e64 v52, v52, 1.0                                // 000000005148: D1010034 0001E534
	v_add_f32_e64 v53, v53, 1.0                                // 000000005150: D1010035 0001E535
	v_rcp_f32_e32 v50, v50                                     // 000000005158: 7E644532
	v_rcp_f32_e32 v51, v51                                     // 00000000515C: 7E664533
	v_rcp_f32_e32 v52, v52                                     // 000000005160: 7E684534
	v_rcp_f32_e32 v53, v53                                     // 000000005164: 7E6A4535
	v_mul_f32_e32 v160, v160, v50                              // 000000005168: 0B4065A0
	v_mul_f32_e32 v161, v161, v51                              // 00000000516C: 0B4267A1
	v_mul_f32_e32 v162, v162, v52                              // 000000005170: 0B4469A2
	v_mul_f32_e32 v163, v163, v53                              // 000000005174: 0B466BA3
	v_mul_f32_e32 v160, v160, v96                              // 000000005178: 0B40C1A0
	v_mul_f32_e32 v161, v161, v97                              // 00000000517C: 0B42C3A1
	v_mul_f32_e32 v162, v162, v98                              // 000000005180: 0B44C5A2
	v_mul_f32_e32 v163, v163, v99                              // 000000005184: 0B46C7A3
	buffer_load_dwordx4 a[72:75], v41, s[12:15], 0 offen       // 000000005188: E05C1000 80834829
	v_mul_f32_e64 v50, -v164, s6                               // 000000005190: D1050032 20000DA4
	v_mul_f32_e64 v51, -v165, s6                               // 000000005198: D1050033 20000DA5
	v_mul_f32_e64 v52, -v166, s6                               // 0000000051A0: D1050034 20000DA6
	v_mul_f32_e64 v53, -v167, s6                               // 0000000051A8: D1050035 20000DA7
	v_exp_f32_e32 v50, v50                                     // 0000000051B0: 7E644132
	v_exp_f32_e32 v51, v51                                     // 0000000051B4: 7E664133
	v_exp_f32_e32 v52, v52                                     // 0000000051B8: 7E684134
	v_exp_f32_e32 v53, v53                                     // 0000000051BC: 7E6A4135
	buffer_load_dwordx4 a[76:79], v42, s[12:15], 0 offen       // 0000000051C0: E05C1000 80834C2A
	v_add_f32_e64 v50, v50, 1.0                                // 0000000051C8: D1010032 0001E532
	v_add_f32_e64 v51, v51, 1.0                                // 0000000051D0: D1010033 0001E533
	v_add_f32_e64 v52, v52, 1.0                                // 0000000051D8: D1010034 0001E534
	v_add_f32_e64 v53, v53, 1.0                                // 0000000051E0: D1010035 0001E535
	v_rcp_f32_e32 v50, v50                                     // 0000000051E8: 7E644532
	v_rcp_f32_e32 v51, v51                                     // 0000000051EC: 7E664533
	v_rcp_f32_e32 v52, v52                                     // 0000000051F0: 7E684534
	v_rcp_f32_e32 v53, v53                                     // 0000000051F4: 7E6A4535
	v_mul_f32_e32 v164, v164, v50                              // 0000000051F8: 0B4865A4
	v_mul_f32_e32 v165, v165, v51                              // 0000000051FC: 0B4A67A5
	v_mul_f32_e32 v166, v166, v52                              // 000000005200: 0B4C69A6
	v_mul_f32_e32 v167, v167, v53                              // 000000005204: 0B4E6BA7
	v_mul_f32_e32 v164, v164, v100                             // 000000005208: 0B48C9A4
	v_mul_f32_e32 v165, v165, v101                             // 00000000520C: 0B4ACBA5
	v_mul_f32_e32 v166, v166, v102                             // 000000005210: 0B4CCDA6
	v_mul_f32_e32 v167, v167, v103                             // 000000005214: 0B4ECFA7
	v_mul_f32_dpp v128, v18, v128 row_newbcast:0 row_mask:0xf bank_mask:0xf// 000000005218: 0B0100FA FF015012
	v_mul_f32_dpp v129, v18, v129 row_newbcast:1 row_mask:0xf bank_mask:0xf// 000000005220: 0B0302FA FF015112
	v_mul_f32_dpp v130, v18, v130 row_newbcast:2 row_mask:0xf bank_mask:0xf// 000000005228: 0B0504FA FF015212
	v_mul_f32_dpp v131, v18, v131 row_newbcast:3 row_mask:0xf bank_mask:0xf// 000000005230: 0B0706FA FF015312
	v_mul_f32_dpp v132, v18, v132 row_newbcast:0 row_mask:0xf bank_mask:0xf// 000000005238: 0B0908FA FF015012
	v_mul_f32_dpp v133, v18, v133 row_newbcast:1 row_mask:0xf bank_mask:0xf// 000000005240: 0B0B0AFA FF015112
	v_mul_f32_dpp v134, v18, v134 row_newbcast:2 row_mask:0xf bank_mask:0xf// 000000005248: 0B0D0CFA FF015212
	v_mul_f32_dpp v135, v18, v135 row_newbcast:3 row_mask:0xf bank_mask:0xf// 000000005250: 0B0F0EFA FF015312
	v_mul_f32_dpp v136, v18, v136 row_newbcast:4 row_mask:0xf bank_mask:0xf// 000000005258: 0B1110FA FF015412
	v_mul_f32_dpp v137, v18, v137 row_newbcast:5 row_mask:0xf bank_mask:0xf// 000000005260: 0B1312FA FF015512
	v_mul_f32_dpp v138, v18, v138 row_newbcast:6 row_mask:0xf bank_mask:0xf// 000000005268: 0B1514FA FF015612
	v_mul_f32_dpp v139, v18, v139 row_newbcast:7 row_mask:0xf bank_mask:0xf// 000000005270: 0B1716FA FF015712
	v_mul_f32_dpp v140, v18, v140 row_newbcast:4 row_mask:0xf bank_mask:0xf// 000000005278: 0B1918FA FF015412
	v_mul_f32_dpp v141, v18, v141 row_newbcast:5 row_mask:0xf bank_mask:0xf// 000000005280: 0B1B1AFA FF015512
	v_mul_f32_dpp v142, v18, v142 row_newbcast:6 row_mask:0xf bank_mask:0xf// 000000005288: 0B1D1CFA FF015612
	v_mul_f32_dpp v143, v18, v143 row_newbcast:7 row_mask:0xf bank_mask:0xf// 000000005290: 0B1F1EFA FF015712
	v_mul_f32_dpp v144, v18, v144 row_newbcast:8 row_mask:0xf bank_mask:0xf// 000000005298: 0B2120FA FF015812
	v_mul_f32_dpp v145, v18, v145 row_newbcast:9 row_mask:0xf bank_mask:0xf// 0000000052A0: 0B2322FA FF015912
	v_mul_f32_dpp v146, v18, v146 row_newbcast:10 row_mask:0xf bank_mask:0xf// 0000000052A8: 0B2524FA FF015A12
	v_mul_f32_dpp v147, v18, v147 row_newbcast:11 row_mask:0xf bank_mask:0xf// 0000000052B0: 0B2726FA FF015B12
	v_mul_f32_dpp v148, v18, v148 row_newbcast:8 row_mask:0xf bank_mask:0xf// 0000000052B8: 0B2928FA FF015812
	v_mul_f32_dpp v149, v18, v149 row_newbcast:9 row_mask:0xf bank_mask:0xf// 0000000052C0: 0B2B2AFA FF015912
	v_mul_f32_dpp v150, v18, v150 row_newbcast:10 row_mask:0xf bank_mask:0xf// 0000000052C8: 0B2D2CFA FF015A12
	v_mul_f32_dpp v151, v18, v151 row_newbcast:11 row_mask:0xf bank_mask:0xf// 0000000052D0: 0B2F2EFA FF015B12
	v_mul_f32_dpp v152, v18, v152 row_newbcast:12 row_mask:0xf bank_mask:0xf// 0000000052D8: 0B3130FA FF015C12
	v_mul_f32_dpp v153, v18, v153 row_newbcast:13 row_mask:0xf bank_mask:0xf// 0000000052E0: 0B3332FA FF015D12
	v_mul_f32_dpp v154, v18, v154 row_newbcast:14 row_mask:0xf bank_mask:0xf// 0000000052E8: 0B3534FA FF015E12
	v_mul_f32_dpp v155, v18, v155 row_newbcast:15 row_mask:0xf bank_mask:0xf// 0000000052F0: 0B3736FA FF015F12
	v_mul_f32_dpp v156, v18, v156 row_newbcast:12 row_mask:0xf bank_mask:0xf// 0000000052F8: 0B3938FA FF015C12
	v_mul_f32_dpp v157, v18, v157 row_newbcast:13 row_mask:0xf bank_mask:0xf// 000000005300: 0B3B3AFA FF015D12
	v_mul_f32_dpp v158, v18, v158 row_newbcast:14 row_mask:0xf bank_mask:0xf// 000000005308: 0B3D3CFA FF015E12
	v_mul_f32_dpp v159, v18, v159 row_newbcast:15 row_mask:0xf bank_mask:0xf// 000000005310: 0B3F3EFA FF015F12
	v_mul_f32_dpp v160, v19, v160 row_newbcast:0 row_mask:0xf bank_mask:0xf// 000000005318: 0B4140FA FF015013
	v_mul_f32_dpp v161, v19, v161 row_newbcast:1 row_mask:0xf bank_mask:0xf// 000000005320: 0B4342FA FF015113
	v_mul_f32_dpp v162, v19, v162 row_newbcast:2 row_mask:0xf bank_mask:0xf// 000000005328: 0B4544FA FF015213
	v_mul_f32_dpp v163, v19, v163 row_newbcast:3 row_mask:0xf bank_mask:0xf// 000000005330: 0B4746FA FF015313
	v_mul_f32_dpp v164, v19, v164 row_newbcast:0 row_mask:0xf bank_mask:0xf// 000000005338: 0B4948FA FF015013
	v_mul_f32_dpp v165, v19, v165 row_newbcast:1 row_mask:0xf bank_mask:0xf// 000000005340: 0B4B4AFA FF015113
	v_mul_f32_dpp v166, v19, v166 row_newbcast:2 row_mask:0xf bank_mask:0xf// 000000005348: 0B4D4CFA FF015213
	v_mul_f32_dpp v167, v19, v167 row_newbcast:3 row_mask:0xf bank_mask:0xf// 000000005350: 0B4F4EFA FF015313
	v_lshlrev_b32_e32 v50, 2, v0                               // 000000005358: 24640082
	s_mul_i32 s60, s82, s71                                    // 00000000535C: 923C4752
	v_add_u32_e64 v80, v50, s60                                // 000000005360: D1340050 00007932
	v_mov_b32_e32 v81, 0                                       // 000000005368: 7EA20280
	s_mul_i32 s60, s83, s71                                    // 00000000536C: 923C4753
	v_add_u32_e64 v82, v50, s60                                // 000000005370: D1340052 00007932
	v_mov_b32_e32 v83, 0                                       // 000000005378: 7EA60280
	s_mul_i32 s60, s84, s71                                    // 00000000537C: 923C4754
	v_add_u32_e64 v84, v50, s60                                // 000000005380: D1340054 00007932
	v_mov_b32_e32 v85, 0                                       // 000000005388: 7EAA0280
	s_mul_i32 s60, s85, s71                                    // 00000000538C: 923C4755
	v_add_u32_e64 v86, v50, s60                                // 000000005390: D1340056 00007932
	v_mov_b32_e32 v87, 0                                       // 000000005398: 7EAE0280
	s_mul_i32 s60, s86, s71                                    // 00000000539C: 923C4756
	v_add_u32_e64 v88, v50, s60                                // 0000000053A0: D1340058 00007932
	v_mov_b32_e32 v89, 0                                       // 0000000053A8: 7EB20280
	s_mul_i32 s60, s87, s71                                    // 0000000053AC: 923C4757
	v_add_u32_e64 v90, v50, s60                                // 0000000053B0: D134005A 00007932
	v_mov_b32_e32 v91, 0                                       // 0000000053B8: 7EB60280
	s_mul_i32 s60, s88, s71                                    // 0000000053BC: 923C4758
	v_add_u32_e64 v92, v50, s60                                // 0000000053C0: D134005C 00007932
	v_mov_b32_e32 v93, 0                                       // 0000000053C8: 7EBA0280
	s_mul_i32 s60, s89, s71                                    // 0000000053CC: 923C4759
	v_add_u32_e64 v94, v50, s60                                // 0000000053D0: D134005E 00007932
	v_mov_b32_e32 v95, 0                                       // 0000000053D8: 7EBE0280
	buffer_load_dword v12, v5, s[16:19], 0 offen               // 0000000053DC: E0501000 80040C05
	v_mov_b32_e32 v22, 0x358637bd                              // 0000000053E4: 7E2C02FF 358637BD
	v_mov_b32_e32 v23, 0x358637bd                              // 0000000053EC: 7E2E02FF 358637BD
	v_max3_f32 v22, |v128|, |v129|, v22                        // 0000000053F4: D1D30316 045B0380
	v_max3_f32 v22, |v130|, |v131|, v22                        // 0000000053FC: D1D30316 045B0782
	v_max3_f32 v23, |v132|, |v133|, v23                        // 000000005404: D1D30317 045F0B84
	v_max3_f32 v23, |v134|, |v135|, v23                        // 00000000540C: D1D30317 045F0F86
	v_max3_f32 v22, |v136|, |v137|, v22                        // 000000005414: D1D30316 045B1388
	v_max3_f32 v22, |v138|, |v139|, v22                        // 00000000541C: D1D30316 045B178A
	v_max3_f32 v23, |v140|, |v141|, v23                        // 000000005424: D1D30317 045F1B8C
	v_max3_f32 v23, |v142|, |v143|, v23                        // 00000000542C: D1D30317 045F1F8E
	v_max3_f32 v22, |v144|, |v145|, v22                        // 000000005434: D1D30316 045B2390
	v_max3_f32 v22, |v146|, |v147|, v22                        // 00000000543C: D1D30316 045B2792
	v_max3_f32 v23, |v148|, |v149|, v23                        // 000000005444: D1D30317 045F2B94
	v_max3_f32 v23, |v150|, |v151|, v23                        // 00000000544C: D1D30317 045F2F96
	v_max3_f32 v22, |v152|, |v153|, v22                        // 000000005454: D1D30316 045B3398
	v_max3_f32 v22, |v154|, |v155|, v22                        // 00000000545C: D1D30316 045B379A
	v_max3_f32 v23, |v156|, |v157|, v23                        // 000000005464: D1D30317 045F3B9C
	v_max3_f32 v23, |v158|, |v159|, v23                        // 00000000546C: D1D30317 045F3F9E
	v_max3_f32 v22, |v160|, |v161|, v22                        // 000000005474: D1D30316 045B43A0
	v_max3_f32 v22, |v162|, |v163|, v22                        // 00000000547C: D1D30316 045B47A2
	v_max3_f32 v23, |v164|, |v165|, v23                        // 000000005484: D1D30317 045F4BA4
	v_max3_f32 v23, |v166|, |v167|, v23                        // 00000000548C: D1D30317 045F4FA6
	v_lshlrev_b32_e32 v50, 3, v0                               // 000000005494: 24640083
	s_mul_i32 s60, 0x200, s7                                   // 000000005498: 923C07FF 00000200
	v_add_u32_e32 v50, s60, v50                                // 0000000054A0: 6864643C
	ds_write_b64 v50, v[22:23] offset:16640                    // 0000000054A4: D89A4100 00001632
	s_waitcnt lgkmcnt(0)                                       // 0000000054AC: BF8CC07F
	s_barrier                                                  // 0000000054B0: BF8A0000
	v_and_b32_e32 v50, 15, v0                                  // 0000000054B4: 2664008F
	v_lshlrev_b32_e32 v50, 3, v50                              // 0000000054B8: 24646483
	ds_read_b64 v[96:97], v50 offset:16640                     // 0000000054BC: D8EC4100 60000032
	ds_read_b64 v[98:99], v50 offset:16768                     // 0000000054C4: D8EC4180 62000032
	ds_read_b64 v[100:101], v50 offset:16896                   // 0000000054CC: D8EC4200 64000032
	ds_read_b64 v[102:103], v50 offset:17024                   // 0000000054D4: D8EC4280 66000032
	ds_read_b64 v[104:105], v50 offset:17152                   // 0000000054DC: D8EC4300 68000032
	ds_read_b64 v[106:107], v50 offset:17280                   // 0000000054E4: D8EC4380 6A000032
	ds_read_b64 v[108:109], v50 offset:17408                   // 0000000054EC: D8EC4400 6C000032
	ds_read_b64 v[110:111], v50 offset:17536                   // 0000000054F4: D8EC4480 6E000032
	ds_read_b64 v[112:113], v50 offset:17664                   // 0000000054FC: D8EC4500 70000032
	ds_read_b64 v[114:115], v50 offset:17792                   // 000000005504: D8EC4580 72000032
	ds_read_b64 v[116:117], v50 offset:17920                   // 00000000550C: D8EC4600 74000032
	ds_read_b64 v[118:119], v50 offset:18048                   // 000000005514: D8EC4680 76000032
	ds_read_b64 v[120:121], v50 offset:18176                   // 00000000551C: D8EC4700 78000032
	ds_read_b64 v[122:123], v50 offset:18304                   // 000000005524: D8EC4780 7A000032
	ds_read_b64 v[124:125], v50 offset:18432                   // 00000000552C: D8EC4800 7C000032
	ds_read_b64 v[126:127], v50 offset:18560                   // 000000005534: D8EC4880 7E000032
	s_waitcnt lgkmcnt(0)                                       // 00000000553C: BF8CC07F
	v_max3_f32 v22, |v96|, |v98|, v22                          // 000000005540: D1D30316 045AC560
	v_max3_f32 v23, |v97|, |v99|, v23                          // 000000005548: D1D30317 045EC761
	v_max3_f32 v22, |v100|, |v102|, v22                        // 000000005550: D1D30316 045ACD64
	v_max3_f32 v23, |v101|, |v103|, v23                        // 000000005558: D1D30317 045ECF65
	v_max3_f32 v22, |v104|, |v106|, v22                        // 000000005560: D1D30316 045AD568
	v_max3_f32 v23, |v105|, |v107|, v23                        // 000000005568: D1D30317 045ED769
	v_max3_f32 v22, |v108|, |v110|, v22                        // 000000005570: D1D30316 045ADD6C
	v_max3_f32 v23, |v109|, |v111|, v23                        // 000000005578: D1D30317 045EDF6D
	v_max3_f32 v22, |v112|, |v114|, v22                        // 000000005580: D1D30316 045AE570
	v_max3_f32 v23, |v113|, |v115|, v23                        // 000000005588: D1D30317 045EE771
	v_max3_f32 v22, |v116|, |v118|, v22                        // 000000005590: D1D30316 045AED74
	v_max3_f32 v23, |v117|, |v119|, v23                        // 000000005598: D1D30317 045EEF75
	v_max3_f32 v22, |v120|, |v122|, v22                        // 0000000055A0: D1D30316 045AF578
	v_max3_f32 v23, |v121|, |v123|, v23                        // 0000000055A8: D1D30317 045EF779
	v_max3_f32 v22, |v124|, |v126|, v22                        // 0000000055B0: D1D30316 045AFD7C
	v_max3_f32 v23, |v125|, |v127|, v23                        // 0000000055B8: D1D30317 045EFF7D
	v_rcp_f32_e32 v22, v22                                     // 0000000055C0: 7E2C4516
	v_rcp_f32_e32 v23, v23                                     // 0000000055C4: 7E2E4517
	v_mov_b32_e32 v50, 0x43e00000                              // 0000000055C8: 7E6402FF 43E00000
	v_mul_f32_e32 v22, v50, v22                                // 0000000055D0: 0A2C2D32
	v_mul_f32_e32 v23, v50, v23                                // 0000000055D4: 0A2E2F32
	v_mul_f32_e32 v128, v22, v128                              // 0000000055D8: 0B010116
	v_mul_f32_e32 v129, v22, v129                              // 0000000055DC: 0B030316
	v_mul_f32_e32 v130, v22, v130                              // 0000000055E0: 0B050516
	v_mul_f32_e32 v131, v22, v131                              // 0000000055E4: 0B070716
	v_cvt_pk_fp8_f32 v128, v128, v129                          // 0000000055E8: D2A20080 00030380
	v_cvt_pk_fp8_f32 v128, v130, v131 op_sel:[0,0,1]           // 0000000055F0: D2A24080 00030782
	v_mul_f32_e32 v132, v23, v132                              // 0000000055F8: 0B090917
	v_mul_f32_e32 v133, v23, v133                              // 0000000055FC: 0B0B0B17
	v_mul_f32_e32 v134, v23, v134                              // 000000005600: 0B0D0D17
	v_mul_f32_e32 v135, v23, v135                              // 000000005604: 0B0F0F17
	v_cvt_pk_fp8_f32 v129, v132, v133                          // 000000005608: D2A20081 00030B84
	v_cvt_pk_fp8_f32 v129, v134, v135 op_sel:[0,0,1]           // 000000005610: D2A24081 00030F86
	v_mul_f32_e32 v136, v22, v136                              // 000000005618: 0B111116
	v_mul_f32_e32 v137, v22, v137                              // 00000000561C: 0B131316
	v_mul_f32_e32 v138, v22, v138                              // 000000005620: 0B151516
	v_mul_f32_e32 v139, v22, v139                              // 000000005624: 0B171716
	v_cvt_pk_fp8_f32 v130, v136, v137                          // 000000005628: D2A20082 00031388
	v_cvt_pk_fp8_f32 v130, v138, v139 op_sel:[0,0,1]           // 000000005630: D2A24082 0003178A
	v_mul_f32_e32 v140, v23, v140                              // 000000005638: 0B191917
	v_mul_f32_e32 v141, v23, v141                              // 00000000563C: 0B1B1B17
	v_mul_f32_e32 v142, v23, v142                              // 000000005640: 0B1D1D17
	v_mul_f32_e32 v143, v23, v143                              // 000000005644: 0B1F1F17
	v_cvt_pk_fp8_f32 v131, v140, v141                          // 000000005648: D2A20083 00031B8C
	v_cvt_pk_fp8_f32 v131, v142, v143 op_sel:[0,0,1]           // 000000005650: D2A24083 00031F8E
	v_mul_f32_e32 v144, v22, v144                              // 000000005658: 0B212116
	v_mul_f32_e32 v145, v22, v145                              // 00000000565C: 0B232316
	v_mul_f32_e32 v146, v22, v146                              // 000000005660: 0B252516
	v_mul_f32_e32 v147, v22, v147                              // 000000005664: 0B272716
	v_cvt_pk_fp8_f32 v132, v144, v145                          // 000000005668: D2A20084 00032390
	v_cvt_pk_fp8_f32 v132, v146, v147 op_sel:[0,0,1]           // 000000005670: D2A24084 00032792
	v_mul_f32_e32 v148, v23, v148                              // 000000005678: 0B292917
	v_mul_f32_e32 v149, v23, v149                              // 00000000567C: 0B2B2B17
	v_mul_f32_e32 v150, v23, v150                              // 000000005680: 0B2D2D17
	v_mul_f32_e32 v151, v23, v151                              // 000000005684: 0B2F2F17
	v_cvt_pk_fp8_f32 v133, v148, v149                          // 000000005688: D2A20085 00032B94
	v_cvt_pk_fp8_f32 v133, v150, v151 op_sel:[0,0,1]           // 000000005690: D2A24085 00032F96
	v_mul_f32_e32 v152, v22, v152                              // 000000005698: 0B313116
	v_mul_f32_e32 v153, v22, v153                              // 00000000569C: 0B333316
	v_mul_f32_e32 v154, v22, v154                              // 0000000056A0: 0B353516
	v_mul_f32_e32 v155, v22, v155                              // 0000000056A4: 0B373716
	v_cvt_pk_fp8_f32 v134, v152, v153                          // 0000000056A8: D2A20086 00033398
	v_cvt_pk_fp8_f32 v134, v154, v155 op_sel:[0,0,1]           // 0000000056B0: D2A24086 0003379A
	v_mul_f32_e32 v156, v23, v156                              // 0000000056B8: 0B393917
	v_mul_f32_e32 v157, v23, v157                              // 0000000056BC: 0B3B3B17
	v_mul_f32_e32 v158, v23, v158                              // 0000000056C0: 0B3D3D17
	v_mul_f32_e32 v159, v23, v159                              // 0000000056C4: 0B3F3F17
	v_cvt_pk_fp8_f32 v135, v156, v157                          // 0000000056C8: D2A20087 00033B9C
	v_cvt_pk_fp8_f32 v135, v158, v159 op_sel:[0,0,1]           // 0000000056D0: D2A24087 00033F9E
	v_mul_f32_e32 v160, v22, v160                              // 0000000056D8: 0B414116
	v_mul_f32_e32 v161, v22, v161                              // 0000000056DC: 0B434316
	v_mul_f32_e32 v162, v22, v162                              // 0000000056E0: 0B454516
	v_mul_f32_e32 v163, v22, v163                              // 0000000056E4: 0B474716
	v_cvt_pk_fp8_f32 v136, v160, v161                          // 0000000056E8: D2A20088 000343A0
	v_cvt_pk_fp8_f32 v136, v162, v163 op_sel:[0,0,1]           // 0000000056F0: D2A24088 000347A2
	v_mul_f32_e32 v164, v23, v164                              // 0000000056F8: 0B494917
	v_mul_f32_e32 v165, v23, v165                              // 0000000056FC: 0B4B4B17
	v_mul_f32_e32 v166, v23, v166                              // 000000005700: 0B4D4D17
	v_mul_f32_e32 v167, v23, v167                              // 000000005704: 0B4F4F17
	v_cvt_pk_fp8_f32 v137, v164, v165                          // 000000005708: D2A20089 00034BA4
	v_cvt_pk_fp8_f32 v137, v166, v167 op_sel:[0,0,1]           // 000000005710: D2A24089 00034FA6
	v_rcp_f32_e32 v24, v22                                     // 000000005718: 7E304516
	v_rcp_f32_e32 v25, v23                                     // 00000000571C: 7E324517
	v_lshrrev_b32_e32 v50, 5, v0                               // 000000005720: 20640085
	v_lshlrev_b32_e32 v51, 5, v50                              // 000000005724: 24666485
	v_and_b32_e32 v50, 31, v0                                  // 000000005728: 2664009F
	v_lshrrev_b32_e32 v52, 4, v50                              // 00000000572C: 20686484
	v_add_u32_e32 v51, v52, v51                                // 000000005730: 68666734
	v_and_b32_e32 v50, 15, v0                                  // 000000005734: 2664008F
	v_lshlrev_b32_e32 v50, 1, v50                              // 000000005738: 24646481
	v_add_u32_e32 v51, v50, v51                                // 00000000573C: 68666732
	v_lshlrev_b32_e32 v50, 2, v51                              // 000000005740: 24646682
	s_mul_i32 s60, 0x100, s7                                   // 000000005744: 923C07FF 00000100
	v_add_u32_e64 v50, v50, s60                                // 00000000574C: D1340032 00007932
	ds_write_b32 v50, v128 offset:18688                        // 000000005754: D81A4900 00008032
	ds_write_b32 v50, v129 offset:23808                        // 00000000575C: D81A5D00 00008132
	ds_write_b32 v50, v130 offset:19712                        // 000000005764: D81A4D00 00008232
	ds_write_b32 v50, v131 offset:24832                        // 00000000576C: D81A6100 00008332
	ds_write_b32 v50, v132 offset:20736                        // 000000005774: D81A5100 00008432
	ds_write_b32 v50, v133 offset:25856                        // 00000000577C: D81A6500 00008532
	ds_write_b32 v50, v134 offset:21760                        // 000000005784: D81A5500 00008632
	ds_write_b32 v50, v135 offset:26880                        // 00000000578C: D81A6900 00008732
	ds_write_b32 v50, v136 offset:22784                        // 000000005794: D81A5900 00008832
	ds_write_b32 v50, v137 offset:27904                        // 00000000579C: D81A6D00 00008932
	s_waitcnt lgkmcnt(0)                                       // 0000000057A4: BF8CC07F
	s_barrier                                                  // 0000000057A8: BF8A0000
	v_lshrrev_b32_e32 v50, 4, v0                               // 0000000057AC: 20640084
	v_lshlrev_b32_e32 v51, 6, v50                              // 0000000057B0: 24666486
	v_and_b32_e32 v50, 15, v0                                  // 0000000057B4: 2664008F
	v_lshlrev_b32_e32 v50, 1, v50                              // 0000000057B8: 24646481
	v_add_u32_e32 v51, v50, v51                                // 0000000057BC: 68666732
	v_lshlrev_b32_e32 v50, 2, v51                              // 0000000057C0: 24646682
	ds_read_b64 v[128:129], v50 offset:18688                   // 0000000057C4: D8EC4900 80000032
	ds_read_b64 v[130:131], v50 offset:18816                   // 0000000057CC: D8EC4980 82000032
	ds_read_b64 v[132:133], v50 offset:19712                   // 0000000057D4: D8EC4D00 84000032
	ds_read_b64 v[134:135], v50 offset:19840                   // 0000000057DC: D8EC4D80 86000032
	ds_read_b64 v[136:137], v50 offset:20736                   // 0000000057E4: D8EC5100 88000032
	ds_read_b64 v[138:139], v50 offset:20864                   // 0000000057EC: D8EC5180 8A000032
	ds_read_b64 v[140:141], v50 offset:21760                   // 0000000057F4: D8EC5500 8C000032
	ds_read_b64 v[142:143], v50 offset:21888                   // 0000000057FC: D8EC5580 8E000032
	ds_read_b64 v[144:145], v50 offset:22784                   // 000000005804: D8EC5900 90000032
	ds_read_b64 v[146:147], v50 offset:22912                   // 00000000580C: D8EC5980 92000032
	ds_read_b64 v[148:149], v50 offset:23808                   // 000000005814: D8EC5D00 94000032
	ds_read_b64 v[150:151], v50 offset:23936                   // 00000000581C: D8EC5D80 96000032
	ds_read_b64 v[152:153], v50 offset:24832                   // 000000005824: D8EC6100 98000032
	ds_read_b64 v[154:155], v50 offset:24960                   // 00000000582C: D8EC6180 9A000032
	ds_read_b64 v[156:157], v50 offset:25856                   // 000000005834: D8EC6500 9C000032
	ds_read_b64 v[158:159], v50 offset:25984                   // 00000000583C: D8EC6580 9E000032
	ds_read_b64 v[160:161], v50 offset:26880                   // 000000005844: D8EC6900 A0000032
	ds_read_b64 v[162:163], v50 offset:27008                   // 00000000584C: D8EC6980 A2000032
	ds_read_b64 v[164:165], v50 offset:27904                   // 000000005854: D8EC6D00 A4000032
	ds_read_b64 v[166:167], v50 offset:28032                   // 00000000585C: D8EC6D80 A6000032
	s_add_u32 s12, s56, s12                                    // 000000005864: 800C0C38
	s_addc_u32 s13, 0, s13                                     // 000000005868: 820D0D80
	s_add_u32 s16, s79, s16                                    // 00000000586C: 8010104F
	s_addc_u32 s17, 0, s17                                     // 000000005870: 82111180
	s_mov_b32 s80, 0                                           // 000000005874: BED00080
	s_waitcnt vmcnt(0) expcnt(0) lgkmcnt(0)                    // 000000005878: BF8C0000

000000000000587c <label_0A9F>:
	s_waitcnt vmcnt(33)                                        // 00000000587C: BF8C8F71
	s_barrier                                                  // 000000005880: BF8A0000
	v_mfma_f32_16x16x32_fp8_fp8 v[168:171], a[0:1], v[128:129], 0// 000000005884: D3F300A8 0A030100
	v_mfma_f32_16x16x32_fp8_fp8 v[168:171], a[2:3], v[130:131], v[168:171]// 00000000588C: D3F300A8 0EA30502
	buffer_load_dwordx4 a[80:83], v39, s[12:15], 0 offen       // 000000005894: E05C1000 80835027
	v_mfma_f32_16x16x32_fp8_fp8 v[172:175], a[0:1], v[148:149], 0// 00000000589C: D3F300AC 0A032900
	v_mfma_f32_16x16x32_fp8_fp8 v[172:175], a[2:3], v[150:151], v[172:175]// 0000000058A4: D3F300AC 0EB32D02
	v_mfma_f32_16x16x32_fp8_fp8 v[176:179], a[4:5], v[128:129], 0// 0000000058AC: D3F300B0 0A030104
	v_mfma_f32_16x16x32_fp8_fp8 v[176:179], a[6:7], v[130:131], v[176:179]// 0000000058B4: D3F300B0 0EC30506
	buffer_load_dwordx4 a[84:87], v40, s[12:15], 0 offen       // 0000000058BC: E05C1000 80835428
	v_mfma_f32_16x16x32_fp8_fp8 v[180:183], a[4:5], v[148:149], 0// 0000000058C4: D3F300B4 0A032904
	v_mfma_f32_16x16x32_fp8_fp8 v[180:183], a[6:7], v[150:151], v[180:183]// 0000000058CC: D3F300B4 0ED32D06
	v_mfma_f32_16x16x32_fp8_fp8 v[184:187], a[8:9], v[128:129], 0// 0000000058D4: D3F300B8 0A030108
	v_mfma_f32_16x16x32_fp8_fp8 v[184:187], a[10:11], v[130:131], v[184:187]// 0000000058DC: D3F300B8 0EE3050A
	buffer_load_dwordx4 a[88:91], v41, s[12:15], 0 offen       // 0000000058E4: E05C1000 80835829
	v_mfma_f32_16x16x32_fp8_fp8 v[188:191], a[8:9], v[148:149], 0// 0000000058EC: D3F300BC 0A032908
	v_mfma_f32_16x16x32_fp8_fp8 v[188:191], a[10:11], v[150:151], v[188:191]// 0000000058F4: D3F300BC 0EF32D0A
	v_mfma_f32_16x16x32_fp8_fp8 v[192:195], a[12:13], v[128:129], 0// 0000000058FC: D3F300C0 0A03010C
	v_mfma_f32_16x16x32_fp8_fp8 v[192:195], a[14:15], v[130:131], v[192:195]// 000000005904: D3F300C0 0F03050E
	buffer_load_dwordx4 a[92:95], v42, s[12:15], 0 offen       // 00000000590C: E05C1000 80835C2A
	s_add_u32 s12, s78, s12                                    // 000000005914: 800C0C4E
	s_addc_u32 s13, 0, s13                                     // 000000005918: 820D0D80
	v_mfma_f32_16x16x32_fp8_fp8 v[196:199], a[12:13], v[148:149], 0// 00000000591C: D3F300C4 0A03290C
	v_mfma_f32_16x16x32_fp8_fp8 v[196:199], a[14:15], v[150:151], v[196:199]// 000000005924: D3F300C4 0F132D0E
	s_waitcnt vmcnt(33)                                        // 00000000592C: BF8C8F71
	v_mfma_f32_16x16x32_fp8_fp8 v[168:171], a[16:17], v[132:133], v[168:171]// 000000005930: D3F300A8 0EA30910
	v_mfma_f32_16x16x32_fp8_fp8 v[168:171], a[18:19], v[134:135], v[168:171]// 000000005938: D3F300A8 0EA30D12
	buffer_load_dwordx4 a[96:99], v39, s[12:15], 0 offen       // 000000005940: E05C1000 80836027
	v_mfma_f32_16x16x32_fp8_fp8 v[172:175], a[16:17], v[152:153], v[172:175]// 000000005948: D3F300AC 0EB33110
	v_mfma_f32_16x16x32_fp8_fp8 v[172:175], a[18:19], v[154:155], v[172:175]// 000000005950: D3F300AC 0EB33512
	v_mfma_f32_16x16x32_fp8_fp8 v[176:179], a[20:21], v[132:133], v[176:179]// 000000005958: D3F300B0 0EC30914
	v_mfma_f32_16x16x32_fp8_fp8 v[176:179], a[22:23], v[134:135], v[176:179]// 000000005960: D3F300B0 0EC30D16
	buffer_load_dwordx4 a[100:103], v40, s[12:15], 0 offen     // 000000005968: E05C1000 80836428
	v_mfma_f32_16x16x32_fp8_fp8 v[180:183], a[20:21], v[152:153], v[180:183]// 000000005970: D3F300B4 0ED33114
	v_mfma_f32_16x16x32_fp8_fp8 v[180:183], a[22:23], v[154:155], v[180:183]// 000000005978: D3F300B4 0ED33516
	v_mfma_f32_16x16x32_fp8_fp8 v[184:187], a[24:25], v[132:133], v[184:187]// 000000005980: D3F300B8 0EE30918
	v_mfma_f32_16x16x32_fp8_fp8 v[184:187], a[26:27], v[134:135], v[184:187]// 000000005988: D3F300B8 0EE30D1A
	buffer_load_dwordx4 a[104:107], v41, s[12:15], 0 offen     // 000000005990: E05C1000 80836829
	v_mfma_f32_16x16x32_fp8_fp8 v[188:191], a[24:25], v[152:153], v[188:191]// 000000005998: D3F300BC 0EF33118
	v_mfma_f32_16x16x32_fp8_fp8 v[188:191], a[26:27], v[154:155], v[188:191]// 0000000059A0: D3F300BC 0EF3351A
	v_mfma_f32_16x16x32_fp8_fp8 v[192:195], a[28:29], v[132:133], v[192:195]// 0000000059A8: D3F300C0 0F03091C
	v_mfma_f32_16x16x32_fp8_fp8 v[192:195], a[30:31], v[134:135], v[192:195]// 0000000059B0: D3F300C0 0F030D1E
	buffer_load_dwordx4 a[108:111], v42, s[12:15], 0 offen     // 0000000059B8: E05C1000 80836C2A
	s_add_u32 s12, s78, s12                                    // 0000000059C0: 800C0C4E
	s_addc_u32 s13, 0, s13                                     // 0000000059C4: 820D0D80
	v_mfma_f32_16x16x32_fp8_fp8 v[196:199], a[28:29], v[152:153], v[196:199]// 0000000059C8: D3F300C4 0F13311C
	v_mfma_f32_16x16x32_fp8_fp8 v[196:199], a[30:31], v[154:155], v[196:199]// 0000000059D0: D3F300C4 0F13351E
	s_waitcnt vmcnt(33)                                        // 0000000059D8: BF8C8F71
	v_mfma_f32_16x16x32_fp8_fp8 v[168:171], a[32:33], v[136:137], v[168:171]// 0000000059DC: D3F300A8 0EA31120
	v_mfma_f32_16x16x32_fp8_fp8 v[168:171], a[34:35], v[138:139], v[168:171]// 0000000059E4: D3F300A8 0EA31522
	buffer_load_dwordx4 a[112:115], v39, s[12:15], 0 offen     // 0000000059EC: E05C1000 80837027
	v_mfma_f32_16x16x32_fp8_fp8 v[172:175], a[32:33], v[156:157], v[172:175]// 0000000059F4: D3F300AC 0EB33920
	v_mfma_f32_16x16x32_fp8_fp8 v[172:175], a[34:35], v[158:159], v[172:175]// 0000000059FC: D3F300AC 0EB33D22
	v_mfma_f32_16x16x32_fp8_fp8 v[176:179], a[36:37], v[136:137], v[176:179]// 000000005A04: D3F300B0 0EC31124
	v_mfma_f32_16x16x32_fp8_fp8 v[176:179], a[38:39], v[138:139], v[176:179]// 000000005A0C: D3F300B0 0EC31526
	buffer_load_dwordx4 a[116:119], v40, s[12:15], 0 offen     // 000000005A14: E05C1000 80837428
	v_mfma_f32_16x16x32_fp8_fp8 v[180:183], a[36:37], v[156:157], v[180:183]// 000000005A1C: D3F300B4 0ED33924
	v_mfma_f32_16x16x32_fp8_fp8 v[180:183], a[38:39], v[158:159], v[180:183]// 000000005A24: D3F300B4 0ED33D26
	v_mfma_f32_16x16x32_fp8_fp8 v[184:187], a[40:41], v[136:137], v[184:187]// 000000005A2C: D3F300B8 0EE31128
	v_mfma_f32_16x16x32_fp8_fp8 v[184:187], a[42:43], v[138:139], v[184:187]// 000000005A34: D3F300B8 0EE3152A
	buffer_load_dwordx4 a[120:123], v41, s[12:15], 0 offen     // 000000005A3C: E05C1000 80837829
	v_mfma_f32_16x16x32_fp8_fp8 v[188:191], a[40:41], v[156:157], v[188:191]// 000000005A44: D3F300BC 0EF33928
	v_mfma_f32_16x16x32_fp8_fp8 v[188:191], a[42:43], v[158:159], v[188:191]// 000000005A4C: D3F300BC 0EF33D2A
	v_mfma_f32_16x16x32_fp8_fp8 v[192:195], a[44:45], v[136:137], v[192:195]// 000000005A54: D3F300C0 0F03112C
	v_mfma_f32_16x16x32_fp8_fp8 v[192:195], a[46:47], v[138:139], v[192:195]// 000000005A5C: D3F300C0 0F03152E
	buffer_load_dwordx4 a[124:127], v42, s[12:15], 0 offen     // 000000005A64: E05C1000 80837C2A
	s_add_u32 s12, s78, s12                                    // 000000005A6C: 800C0C4E
	s_addc_u32 s13, 0, s13                                     // 000000005A70: 820D0D80
	v_mfma_f32_16x16x32_fp8_fp8 v[196:199], a[44:45], v[156:157], v[196:199]// 000000005A74: D3F300C4 0F13392C
	v_mfma_f32_16x16x32_fp8_fp8 v[196:199], a[46:47], v[158:159], v[196:199]// 000000005A7C: D3F300C4 0F133D2E
	s_waitcnt vmcnt(33)                                        // 000000005A84: BF8C8F71
	v_mfma_f32_16x16x32_fp8_fp8 v[168:171], a[48:49], v[140:141], v[168:171]// 000000005A88: D3F300A8 0EA31930
	v_mfma_f32_16x16x32_fp8_fp8 v[168:171], a[50:51], v[142:143], v[168:171]// 000000005A90: D3F300A8 0EA31D32
	buffer_load_dwordx4 a[128:131], v39, s[12:15], 0 offen     // 000000005A98: E05C1000 80838027
	v_mfma_f32_16x16x32_fp8_fp8 v[172:175], a[48:49], v[160:161], v[172:175]// 000000005AA0: D3F300AC 0EB34130
	v_mfma_f32_16x16x32_fp8_fp8 v[172:175], a[50:51], v[162:163], v[172:175]// 000000005AA8: D3F300AC 0EB34532
	v_mfma_f32_16x16x32_fp8_fp8 v[176:179], a[52:53], v[140:141], v[176:179]// 000000005AB0: D3F300B0 0EC31934
	v_mfma_f32_16x16x32_fp8_fp8 v[176:179], a[54:55], v[142:143], v[176:179]// 000000005AB8: D3F300B0 0EC31D36
	buffer_load_dwordx4 a[132:135], v40, s[12:15], 0 offen     // 000000005AC0: E05C1000 80838428
	v_mfma_f32_16x16x32_fp8_fp8 v[180:183], a[52:53], v[160:161], v[180:183]// 000000005AC8: D3F300B4 0ED34134
	v_mfma_f32_16x16x32_fp8_fp8 v[180:183], a[54:55], v[162:163], v[180:183]// 000000005AD0: D3F300B4 0ED34536
	v_mfma_f32_16x16x32_fp8_fp8 v[184:187], a[56:57], v[140:141], v[184:187]// 000000005AD8: D3F300B8 0EE31938
	v_mfma_f32_16x16x32_fp8_fp8 v[184:187], a[58:59], v[142:143], v[184:187]// 000000005AE0: D3F300B8 0EE31D3A
	buffer_load_dwordx4 a[136:139], v41, s[12:15], 0 offen     // 000000005AE8: E05C1000 80838829
	v_mfma_f32_16x16x32_fp8_fp8 v[188:191], a[56:57], v[160:161], v[188:191]// 000000005AF0: D3F300BC 0EF34138
	v_mfma_f32_16x16x32_fp8_fp8 v[188:191], a[58:59], v[162:163], v[188:191]// 000000005AF8: D3F300BC 0EF3453A
	v_mfma_f32_16x16x32_fp8_fp8 v[192:195], a[60:61], v[140:141], v[192:195]// 000000005B00: D3F300C0 0F03193C
	v_mfma_f32_16x16x32_fp8_fp8 v[192:195], a[62:63], v[142:143], v[192:195]// 000000005B08: D3F300C0 0F031D3E
	buffer_load_dwordx4 a[140:143], v42, s[12:15], 0 offen     // 000000005B10: E05C1000 80838C2A
	s_add_u32 s12, s78, s12                                    // 000000005B18: 800C0C4E
	s_addc_u32 s13, 0, s13                                     // 000000005B1C: 820D0D80
	v_mfma_f32_16x16x32_fp8_fp8 v[196:199], a[60:61], v[160:161], v[196:199]// 000000005B20: D3F300C4 0F13413C
	v_mfma_f32_16x16x32_fp8_fp8 v[196:199], a[62:63], v[162:163], v[196:199]// 000000005B28: D3F300C4 0F13453E
	s_waitcnt vmcnt(32)                                        // 000000005B30: BF8C8F70
	v_mfma_f32_16x16x32_fp8_fp8 v[168:171], a[64:65], v[144:145], v[168:171]// 000000005B34: D3F300A8 0EA32140
	v_mfma_f32_16x16x32_fp8_fp8 v[168:171], a[66:67], v[146:147], v[168:171]// 000000005B3C: D3F300A8 0EA32542
	buffer_load_dwordx4 a[144:147], v39, s[12:15], 0 offen     // 000000005B44: E05C1000 80839027
	v_mfma_f32_16x16x32_fp8_fp8 v[172:175], a[64:65], v[164:165], v[172:175]// 000000005B4C: D3F300AC 0EB34940
	v_mfma_f32_16x16x32_fp8_fp8 v[172:175], a[66:67], v[166:167], v[172:175]// 000000005B54: D3F300AC 0EB34D42
	buffer_load_dword v13, v5, s[16:19], 0 offen               // 000000005B5C: E0501000 80040D05
	v_mfma_f32_16x16x32_fp8_fp8 v[176:179], a[68:69], v[144:145], v[176:179]// 000000005B64: D3F300B0 0EC32144
	v_mfma_f32_16x16x32_fp8_fp8 v[176:179], a[70:71], v[146:147], v[176:179]// 000000005B6C: D3F300B0 0EC32546
	buffer_load_dwordx4 a[148:151], v40, s[12:15], 0 offen     // 000000005B74: E05C1000 80839428
	v_mfma_f32_16x16x32_fp8_fp8 v[180:183], a[68:69], v[164:165], v[180:183]// 000000005B7C: D3F300B4 0ED34944
	v_mfma_f32_16x16x32_fp8_fp8 v[180:183], a[70:71], v[166:167], v[180:183]// 000000005B84: D3F300B4 0ED34D46
	v_mfma_f32_16x16x32_fp8_fp8 v[184:187], a[72:73], v[144:145], v[184:187]// 000000005B8C: D3F300B8 0EE32148
	v_mfma_f32_16x16x32_fp8_fp8 v[184:187], a[74:75], v[146:147], v[184:187]// 000000005B94: D3F300B8 0EE3254A
	buffer_load_dwordx4 a[152:155], v41, s[12:15], 0 offen     // 000000005B9C: E05C1000 80839829
	v_mfma_f32_16x16x32_fp8_fp8 v[188:191], a[72:73], v[164:165], v[188:191]// 000000005BA4: D3F300BC 0EF34948
	v_mfma_f32_16x16x32_fp8_fp8 v[188:191], a[74:75], v[166:167], v[188:191]// 000000005BAC: D3F300BC 0EF34D4A
	v_mfma_f32_16x16x32_fp8_fp8 v[192:195], a[76:77], v[144:145], v[192:195]// 000000005BB4: D3F300C0 0F03214C
	v_mfma_f32_16x16x32_fp8_fp8 v[192:195], a[78:79], v[146:147], v[192:195]// 000000005BBC: D3F300C0 0F03254E
	buffer_load_dwordx4 a[156:159], v42, s[12:15], 0 offen     // 000000005BC4: E05C1000 80839C2A
	v_mfma_f32_16x16x32_fp8_fp8 v[196:199], a[76:77], v[164:165], v[196:199]// 000000005BCC: D3F300C4 0F13494C
	v_mfma_f32_16x16x32_fp8_fp8 v[196:199], a[78:79], v[166:167], v[196:199]// 000000005BD4: D3F300C4 0F134D4E
	s_add_u32 s60, 0x200, s80                                  // 000000005BDC: 803C50FF 00000200
	s_cmp_lt_u32 s60, s81                                      // 000000005BE4: BF0A513C
	s_cselect_b32 s56, s56, 0                                  // 000000005BE8: 85388038
	s_cselect_b32 s78, s78, 0                                  // 000000005BEC: 854E804E
	s_cselect_b32 s79, s79, 0                                  // 000000005BF0: 854F804F
	s_add_u32 s12, s56, s12                                    // 000000005BF4: 800C0C38
	s_addc_u32 s13, 0, s13                                     // 000000005BF8: 820D0D80
	s_add_u32 s16, s79, s16                                    // 000000005BFC: 8010104F
	s_addc_u32 s17, 0, s17                                     // 000000005C00: 82111180
	v_mul_f32_e32 v168, v24, v168                              // 000000005C04: 0B515118
	v_mul_f32_e32 v169, v24, v169                              // 000000005C08: 0B535318
	v_mul_f32_e32 v170, v24, v170                              // 000000005C0C: 0B555518
	v_mul_f32_e32 v171, v24, v171                              // 000000005C10: 0B575718
	v_mul_f32_dpp v168, v12, v168 row_newbcast:0 row_mask:0xf bank_mask:0xf// 000000005C14: 0B5150FA FF01500C
	v_mul_f32_dpp v169, v12, v169 row_newbcast:1 row_mask:0xf bank_mask:0xf// 000000005C1C: 0B5352FA FF01510C
	v_mul_f32_dpp v170, v12, v170 row_newbcast:2 row_mask:0xf bank_mask:0xf// 000000005C24: 0B5554FA FF01520C
	v_mul_f32_dpp v171, v12, v171 row_newbcast:3 row_mask:0xf bank_mask:0xf// 000000005C2C: 0B5756FA FF01530C
	v_mul_f32_e32 v168, v20, v168                              // 000000005C34: 0B515114
	v_mul_f32_e32 v169, v20, v169                              // 000000005C38: 0B535314
	v_mul_f32_e32 v170, v20, v170                              // 000000005C3C: 0B555514
	v_mul_f32_e32 v171, v20, v171                              // 000000005C40: 0B575714
	v_mul_f32_e32 v172, v25, v172                              // 000000005C44: 0B595919
	v_mul_f32_e32 v173, v25, v173                              // 000000005C48: 0B5B5B19
	v_mul_f32_e32 v174, v25, v174                              // 000000005C4C: 0B5D5D19
	v_mul_f32_e32 v175, v25, v175                              // 000000005C50: 0B5F5F19
	v_mul_f32_dpp v172, v12, v172 row_newbcast:0 row_mask:0xf bank_mask:0xf// 000000005C54: 0B5958FA FF01500C
	v_mul_f32_dpp v173, v12, v173 row_newbcast:1 row_mask:0xf bank_mask:0xf// 000000005C5C: 0B5B5AFA FF01510C
	v_mul_f32_dpp v174, v12, v174 row_newbcast:2 row_mask:0xf bank_mask:0xf// 000000005C64: 0B5D5CFA FF01520C
	v_mul_f32_dpp v175, v12, v175 row_newbcast:3 row_mask:0xf bank_mask:0xf// 000000005C6C: 0B5F5EFA FF01530C
	v_mul_f32_e32 v172, v21, v172                              // 000000005C74: 0B595915
	v_mul_f32_e32 v173, v21, v173                              // 000000005C78: 0B5B5B15
	v_mul_f32_e32 v174, v21, v174                              // 000000005C7C: 0B5D5D15
	v_mul_f32_e32 v175, v21, v175                              // 000000005C80: 0B5F5F15
	v_mul_f32_e32 v176, v24, v176                              // 000000005C84: 0B616118
	v_mul_f32_e32 v177, v24, v177                              // 000000005C88: 0B636318
	v_mul_f32_e32 v178, v24, v178                              // 000000005C8C: 0B656518
	v_mul_f32_e32 v179, v24, v179                              // 000000005C90: 0B676718
	v_mul_f32_dpp v176, v12, v176 row_newbcast:4 row_mask:0xf bank_mask:0xf// 000000005C94: 0B6160FA FF01540C
	v_mul_f32_dpp v177, v12, v177 row_newbcast:5 row_mask:0xf bank_mask:0xf// 000000005C9C: 0B6362FA FF01550C
	v_mul_f32_dpp v178, v12, v178 row_newbcast:6 row_mask:0xf bank_mask:0xf// 000000005CA4: 0B6564FA FF01560C
	v_mul_f32_dpp v179, v12, v179 row_newbcast:7 row_mask:0xf bank_mask:0xf// 000000005CAC: 0B6766FA FF01570C
	v_mul_f32_e32 v176, v20, v176                              // 000000005CB4: 0B616114
	v_mul_f32_e32 v177, v20, v177                              // 000000005CB8: 0B636314
	v_mul_f32_e32 v178, v20, v178                              // 000000005CBC: 0B656514
	v_mul_f32_e32 v179, v20, v179                              // 000000005CC0: 0B676714
	v_mul_f32_e32 v180, v25, v180                              // 000000005CC4: 0B696919
	v_mul_f32_e32 v181, v25, v181                              // 000000005CC8: 0B6B6B19
	v_mul_f32_e32 v182, v25, v182                              // 000000005CCC: 0B6D6D19
	v_mul_f32_e32 v183, v25, v183                              // 000000005CD0: 0B6F6F19
	v_mul_f32_dpp v180, v12, v180 row_newbcast:4 row_mask:0xf bank_mask:0xf// 000000005CD4: 0B6968FA FF01540C
	v_mul_f32_dpp v181, v12, v181 row_newbcast:5 row_mask:0xf bank_mask:0xf// 000000005CDC: 0B6B6AFA FF01550C
	v_mul_f32_dpp v182, v12, v182 row_newbcast:6 row_mask:0xf bank_mask:0xf// 000000005CE4: 0B6D6CFA FF01560C
	v_mul_f32_dpp v183, v12, v183 row_newbcast:7 row_mask:0xf bank_mask:0xf// 000000005CEC: 0B6F6EFA FF01570C
	v_mul_f32_e32 v180, v21, v180                              // 000000005CF4: 0B696915
	v_mul_f32_e32 v181, v21, v181                              // 000000005CF8: 0B6B6B15
	v_mul_f32_e32 v182, v21, v182                              // 000000005CFC: 0B6D6D15
	v_mul_f32_e32 v183, v21, v183                              // 000000005D00: 0B6F6F15
	v_mul_f32_e32 v184, v24, v184                              // 000000005D04: 0B717118
	v_mul_f32_e32 v185, v24, v185                              // 000000005D08: 0B737318
	v_mul_f32_e32 v186, v24, v186                              // 000000005D0C: 0B757518
	v_mul_f32_e32 v187, v24, v187                              // 000000005D10: 0B777718
	v_mul_f32_dpp v184, v12, v184 row_newbcast:8 row_mask:0xf bank_mask:0xf// 000000005D14: 0B7170FA FF01580C
	v_mul_f32_dpp v185, v12, v185 row_newbcast:9 row_mask:0xf bank_mask:0xf// 000000005D1C: 0B7372FA FF01590C
	v_mul_f32_dpp v186, v12, v186 row_newbcast:10 row_mask:0xf bank_mask:0xf// 000000005D24: 0B7574FA FF015A0C
	v_mul_f32_dpp v187, v12, v187 row_newbcast:11 row_mask:0xf bank_mask:0xf// 000000005D2C: 0B7776FA FF015B0C
	v_mul_f32_e32 v184, v20, v184                              // 000000005D34: 0B717114
	v_mul_f32_e32 v185, v20, v185                              // 000000005D38: 0B737314
	v_mul_f32_e32 v186, v20, v186                              // 000000005D3C: 0B757514
	v_mul_f32_e32 v187, v20, v187                              // 000000005D40: 0B777714
	v_mul_f32_e32 v188, v25, v188                              // 000000005D44: 0B797919
	v_mul_f32_e32 v189, v25, v189                              // 000000005D48: 0B7B7B19
	v_mul_f32_e32 v190, v25, v190                              // 000000005D4C: 0B7D7D19
	v_mul_f32_e32 v191, v25, v191                              // 000000005D50: 0B7F7F19
	v_mul_f32_dpp v188, v12, v188 row_newbcast:8 row_mask:0xf bank_mask:0xf// 000000005D54: 0B7978FA FF01580C
	v_mul_f32_dpp v189, v12, v189 row_newbcast:9 row_mask:0xf bank_mask:0xf// 000000005D5C: 0B7B7AFA FF01590C
	v_mul_f32_dpp v190, v12, v190 row_newbcast:10 row_mask:0xf bank_mask:0xf// 000000005D64: 0B7D7CFA FF015A0C
	v_mul_f32_dpp v191, v12, v191 row_newbcast:11 row_mask:0xf bank_mask:0xf// 000000005D6C: 0B7F7EFA FF015B0C
	v_mul_f32_e32 v188, v21, v188                              // 000000005D74: 0B797915
	v_mul_f32_e32 v189, v21, v189                              // 000000005D78: 0B7B7B15
	v_mul_f32_e32 v190, v21, v190                              // 000000005D7C: 0B7D7D15
	v_mul_f32_e32 v191, v21, v191                              // 000000005D80: 0B7F7F15
	v_mul_f32_e32 v192, v24, v192                              // 000000005D84: 0B818118
	v_mul_f32_e32 v193, v24, v193                              // 000000005D88: 0B838318
	v_mul_f32_e32 v194, v24, v194                              // 000000005D8C: 0B858518
	v_mul_f32_e32 v195, v24, v195                              // 000000005D90: 0B878718
	v_mul_f32_dpp v192, v12, v192 row_newbcast:12 row_mask:0xf bank_mask:0xf// 000000005D94: 0B8180FA FF015C0C
	v_mul_f32_dpp v193, v12, v193 row_newbcast:13 row_mask:0xf bank_mask:0xf// 000000005D9C: 0B8382FA FF015D0C
	v_mul_f32_dpp v194, v12, v194 row_newbcast:14 row_mask:0xf bank_mask:0xf// 000000005DA4: 0B8584FA FF015E0C
	v_mul_f32_dpp v195, v12, v195 row_newbcast:15 row_mask:0xf bank_mask:0xf// 000000005DAC: 0B8786FA FF015F0C
	v_mul_f32_e32 v192, v20, v192                              // 000000005DB4: 0B818114
	v_mul_f32_e32 v193, v20, v193                              // 000000005DB8: 0B838314
	v_mul_f32_e32 v194, v20, v194                              // 000000005DBC: 0B858514
	v_mul_f32_e32 v195, v20, v195                              // 000000005DC0: 0B878714
	v_mul_f32_e32 v196, v25, v196                              // 000000005DC4: 0B898919
	v_mul_f32_e32 v197, v25, v197                              // 000000005DC8: 0B8B8B19
	v_mul_f32_e32 v198, v25, v198                              // 000000005DCC: 0B8D8D19
	v_mul_f32_e32 v199, v25, v199                              // 000000005DD0: 0B8F8F19
	v_mul_f32_dpp v196, v12, v196 row_newbcast:12 row_mask:0xf bank_mask:0xf// 000000005DD4: 0B8988FA FF015C0C
	v_mul_f32_dpp v197, v12, v197 row_newbcast:13 row_mask:0xf bank_mask:0xf// 000000005DDC: 0B8B8AFA FF015D0C
	v_mul_f32_dpp v198, v12, v198 row_newbcast:14 row_mask:0xf bank_mask:0xf// 000000005DE4: 0B8D8CFA FF015E0C
	v_mul_f32_dpp v199, v12, v199 row_newbcast:15 row_mask:0xf bank_mask:0xf// 000000005DEC: 0B8F8EFA FF015F0C
	v_mul_f32_e32 v196, v21, v196                              // 000000005DF4: 0B898915
	v_mul_f32_e32 v197, v21, v197                              // 000000005DF8: 0B8B8B15
	v_mul_f32_e32 v198, v21, v198                              // 000000005DFC: 0B8D8D15
	v_mul_f32_e32 v199, v21, v199                              // 000000005E00: 0B8F8F15
	v_cvt_pkrtz_f16_f32 v168, v168, v169                       // 000000005E04: D29600A8 000353A8
	v_cvt_pkrtz_f16_f32 v169, v170, v171                       // 000000005E0C: D29600A9 000357AA
	v_cvt_pkrtz_f16_f32 v170, v172, v173                       // 000000005E14: D29600AA 00035BAC
	v_cvt_pkrtz_f16_f32 v171, v174, v175                       // 000000005E1C: D29600AB 00035FAE
	v_cvt_pkrtz_f16_f32 v172, v176, v177                       // 000000005E24: D29600AC 000363B0
	v_cvt_pkrtz_f16_f32 v173, v178, v179                       // 000000005E2C: D29600AD 000367B2
	v_cvt_pkrtz_f16_f32 v174, v180, v181                       // 000000005E34: D29600AE 00036BB4
	v_cvt_pkrtz_f16_f32 v175, v182, v183                       // 000000005E3C: D29600AF 00036FB6
	v_cvt_pkrtz_f16_f32 v176, v184, v185                       // 000000005E44: D29600B0 000373B8
	v_cvt_pkrtz_f16_f32 v177, v186, v187                       // 000000005E4C: D29600B1 000377BA
	v_cvt_pkrtz_f16_f32 v178, v188, v189                       // 000000005E54: D29600B2 00037BBC
	v_cvt_pkrtz_f16_f32 v179, v190, v191                       // 000000005E5C: D29600B3 00037FBE
	v_cvt_pkrtz_f16_f32 v180, v192, v193                       // 000000005E64: D29600B4 000383C0
	v_cvt_pkrtz_f16_f32 v181, v194, v195                       // 000000005E6C: D29600B5 000387C2
	v_cvt_pkrtz_f16_f32 v182, v196, v197                       // 000000005E74: D29600B6 00038BC4
	v_cvt_pkrtz_f16_f32 v183, v198, v199                       // 000000005E7C: D29600B7 00038FC6
	ds_write_b64 v3, v[168:169] offset:28928                   // 000000005E84: D89A7100 0000A803
	ds_write_b64 v3, v[170:171] offset:37632                   // 000000005E8C: D89A9300 0000AA03
	ds_write_b64 v3, v[172:173] offset:31104                   // 000000005E94: D89A7980 0000AC03
	ds_write_b64 v3, v[174:175] offset:39808                   // 000000005E9C: D89A9B80 0000AE03
	ds_write_b64 v3, v[176:177] offset:33280                   // 000000005EA4: D89A8200 0000B003
	ds_write_b64 v3, v[178:179] offset:41984                   // 000000005EAC: D89AA400 0000B203
	ds_write_b64 v3, v[180:181] offset:35456                   // 000000005EB4: D89A8A80 0000B403
	ds_write_b64 v3, v[182:183] offset:44160                   // 000000005EBC: D89AAC80 0000B603
	s_waitcnt lgkmcnt(0)                                       // 000000005EC4: BF8CC07F
	s_barrier                                                  // 000000005EC8: BF8A0000
	ds_read_b32 v64, v4 offset:28928                           // 000000005ECC: D86C7100 40000004
	ds_read_b32 v65, v4 offset:33280                           // 000000005ED4: D86C8200 41000004
	ds_read_b32 v66, v4 offset:28960                           // 000000005EDC: D86C7120 42000004
	ds_read_b32 v67, v4 offset:33312                           // 000000005EE4: D86C8220 43000004
	ds_read_b32 v68, v4 offset:28992                           // 000000005EEC: D86C7140 44000004
	ds_read_b32 v69, v4 offset:33344                           // 000000005EF4: D86C8240 45000004
	ds_read_b32 v70, v4 offset:29024                           // 000000005EFC: D86C7160 46000004
	ds_read_b32 v71, v4 offset:33376                           // 000000005F04: D86C8260 47000004
	ds_read_b32 v72, v4 offset:37632                           // 000000005F0C: D86C9300 48000004
	ds_read_b32 v73, v4 offset:41984                           // 000000005F14: D86CA400 49000004
	ds_read_b32 v74, v4 offset:37664                           // 000000005F1C: D86C9320 4A000004
	ds_read_b32 v75, v4 offset:42016                           // 000000005F24: D86CA420 4B000004
	ds_read_b32 v76, v4 offset:37696                           // 000000005F2C: D86C9340 4C000004
	ds_read_b32 v77, v4 offset:42048                           // 000000005F34: D86CA440 4D000004
	ds_read_b32 v78, v4 offset:37728                           // 000000005F3C: D86C9360 4E000004
	ds_read_b32 v79, v4 offset:42080                           // 000000005F44: D86CA460 4F000004
	s_waitcnt lgkmcnt(0)                                       // 000000005F4C: BF8CC07F
	s_mov_b64 exec, s[20:21]                                   // 000000005F50: BEFE0114
	global_atomic_pk_add_f16 v80, v64, s[8:9]                  // 000000005F54: DD388000 00084050
	s_mov_b64 exec, s[36:37]                                   // 000000005F5C: BEFE0124
	s_mov_b64 exec, s[20:21]                                   // 000000005F60: BEFE0114
	global_atomic_pk_add_f16 v80, v65, s[8:9] offset:256       // 000000005F64: DD388100 00084150
	s_mov_b64 exec, s[36:37]                                   // 000000005F6C: BEFE0124
	s_mov_b64 exec, s[22:23]                                   // 000000005F70: BEFE0116
	global_atomic_pk_add_f16 v82, v66, s[8:9]                  // 000000005F74: DD388000 00084252
	s_mov_b64 exec, s[36:37]                                   // 000000005F7C: BEFE0124
	s_mov_b64 exec, s[22:23]                                   // 000000005F80: BEFE0116
	global_atomic_pk_add_f16 v82, v67, s[8:9] offset:256       // 000000005F84: DD388100 00084352
	s_mov_b64 exec, s[36:37]                                   // 000000005F8C: BEFE0124
	s_mov_b64 exec, s[24:25]                                   // 000000005F90: BEFE0118
	global_atomic_pk_add_f16 v84, v68, s[8:9]                  // 000000005F94: DD388000 00084454
	s_mov_b64 exec, s[36:37]                                   // 000000005F9C: BEFE0124
	s_mov_b64 exec, s[24:25]                                   // 000000005FA0: BEFE0118
	global_atomic_pk_add_f16 v84, v69, s[8:9] offset:256       // 000000005FA4: DD388100 00084554
	s_mov_b64 exec, s[36:37]                                   // 000000005FAC: BEFE0124
	s_mov_b64 exec, s[26:27]                                   // 000000005FB0: BEFE011A
	global_atomic_pk_add_f16 v86, v70, s[8:9]                  // 000000005FB4: DD388000 00084656
	s_mov_b64 exec, s[36:37]                                   // 000000005FBC: BEFE0124
	s_mov_b64 exec, s[26:27]                                   // 000000005FC0: BEFE011A
	global_atomic_pk_add_f16 v86, v71, s[8:9] offset:256       // 000000005FC4: DD388100 00084756
	s_mov_b64 exec, s[36:37]                                   // 000000005FCC: BEFE0124
	s_mov_b64 exec, s[28:29]                                   // 000000005FD0: BEFE011C
	global_atomic_pk_add_f16 v88, v72, s[8:9]                  // 000000005FD4: DD388000 00084858
	s_mov_b64 exec, s[36:37]                                   // 000000005FDC: BEFE0124
	s_mov_b64 exec, s[28:29]                                   // 000000005FE0: BEFE011C
	global_atomic_pk_add_f16 v88, v73, s[8:9] offset:256       // 000000005FE4: DD388100 00084958
	s_mov_b64 exec, s[36:37]                                   // 000000005FEC: BEFE0124
	s_mov_b64 exec, s[30:31]                                   // 000000005FF0: BEFE011E
	global_atomic_pk_add_f16 v90, v74, s[8:9]                  // 000000005FF4: DD388000 00084A5A
	s_mov_b64 exec, s[36:37]                                   // 000000005FFC: BEFE0124
	s_mov_b64 exec, s[30:31]                                   // 000000006000: BEFE011E
	global_atomic_pk_add_f16 v90, v75, s[8:9] offset:256       // 000000006004: DD388100 00084B5A
	s_mov_b64 exec, s[36:37]                                   // 00000000600C: BEFE0124
	s_mov_b64 exec, s[32:33]                                   // 000000006010: BEFE0120
	global_atomic_pk_add_f16 v92, v76, s[8:9]                  // 000000006014: DD388000 00084C5C
	s_mov_b64 exec, s[36:37]                                   // 00000000601C: BEFE0124
	s_mov_b64 exec, s[32:33]                                   // 000000006020: BEFE0120
	global_atomic_pk_add_f16 v92, v77, s[8:9] offset:256       // 000000006024: DD388100 00084D5C
	s_mov_b64 exec, s[36:37]                                   // 00000000602C: BEFE0124
	s_mov_b64 exec, s[34:35]                                   // 000000006030: BEFE0122
	global_atomic_pk_add_f16 v94, v78, s[8:9]                  // 000000006034: DD388000 00084E5E
	s_mov_b64 exec, s[36:37]                                   // 00000000603C: BEFE0124
	s_mov_b64 exec, s[34:35]                                   // 000000006040: BEFE0122
	global_atomic_pk_add_f16 v94, v79, s[8:9] offset:256       // 000000006044: DD388100 00084F5E
	s_mov_b64 exec, s[36:37]                                   // 00000000604C: BEFE0124
	s_add_u32 s8, s59, s8                                      // 000000006050: 8008083B
	s_addc_u32 s9, 0, s9                                       // 000000006054: 82090980
	s_addk_i32 s80, 0x100                                      // 000000006058: B7500100
	s_cmp_lt_i32 s80, s81                                      // 00000000605C: BF045150
	s_cbranch_scc0 label_0E94                                  // 000000006060: BF8401FB
	s_waitcnt vmcnt(33)                                        // 000000006064: BF8C8F71
	s_barrier                                                  // 000000006068: BF8A0000
	v_mfma_f32_16x16x32_fp8_fp8 v[200:203], a[80:81], v[128:129], 0// 00000000606C: D3F300C8 0A030150
	v_mfma_f32_16x16x32_fp8_fp8 v[200:203], a[82:83], v[130:131], v[200:203]// 000000006074: D3F300C8 0F230552
	buffer_load_dwordx4 a[0:3], v39, s[12:15], 0 offen         // 00000000607C: E05C1000 80830027
	v_mfma_f32_16x16x32_fp8_fp8 v[204:207], a[80:81], v[148:149], 0// 000000006084: D3F300CC 0A032950
	v_mfma_f32_16x16x32_fp8_fp8 v[204:207], a[82:83], v[150:151], v[204:207]// 00000000608C: D3F300CC 0F332D52
	v_mfma_f32_16x16x32_fp8_fp8 v[208:211], a[84:85], v[128:129], 0// 000000006094: D3F300D0 0A030154
	v_mfma_f32_16x16x32_fp8_fp8 v[208:211], a[86:87], v[130:131], v[208:211]// 00000000609C: D3F300D0 0F430556
	buffer_load_dwordx4 a[4:7], v40, s[12:15], 0 offen         // 0000000060A4: E05C1000 80830428
	v_mfma_f32_16x16x32_fp8_fp8 v[212:215], a[84:85], v[148:149], 0// 0000000060AC: D3F300D4 0A032954
	v_mfma_f32_16x16x32_fp8_fp8 v[212:215], a[86:87], v[150:151], v[212:215]// 0000000060B4: D3F300D4 0F532D56
	v_mfma_f32_16x16x32_fp8_fp8 v[216:219], a[88:89], v[128:129], 0// 0000000060BC: D3F300D8 0A030158
	v_mfma_f32_16x16x32_fp8_fp8 v[216:219], a[90:91], v[130:131], v[216:219]// 0000000060C4: D3F300D8 0F63055A
	buffer_load_dwordx4 a[8:11], v41, s[12:15], 0 offen        // 0000000060CC: E05C1000 80830829
	v_mfma_f32_16x16x32_fp8_fp8 v[220:223], a[88:89], v[148:149], 0// 0000000060D4: D3F300DC 0A032958
	v_mfma_f32_16x16x32_fp8_fp8 v[220:223], a[90:91], v[150:151], v[220:223]// 0000000060DC: D3F300DC 0F732D5A
	v_mfma_f32_16x16x32_fp8_fp8 v[224:227], a[92:93], v[128:129], 0// 0000000060E4: D3F300E0 0A03015C
	v_mfma_f32_16x16x32_fp8_fp8 v[224:227], a[94:95], v[130:131], v[224:227]// 0000000060EC: D3F300E0 0F83055E
	buffer_load_dwordx4 a[12:15], v42, s[12:15], 0 offen       // 0000000060F4: E05C1000 80830C2A
	s_add_u32 s12, s78, s12                                    // 0000000060FC: 800C0C4E
	s_addc_u32 s13, 0, s13                                     // 000000006100: 820D0D80
	v_mfma_f32_16x16x32_fp8_fp8 v[228:231], a[92:93], v[148:149], 0// 000000006104: D3F300E4 0A03295C
	v_mfma_f32_16x16x32_fp8_fp8 v[228:231], a[94:95], v[150:151], v[228:231]// 00000000610C: D3F300E4 0F932D5E
	s_waitcnt vmcnt(33)                                        // 000000006114: BF8C8F71
	v_mfma_f32_16x16x32_fp8_fp8 v[200:203], a[96:97], v[132:133], v[200:203]// 000000006118: D3F300C8 0F230960
	v_mfma_f32_16x16x32_fp8_fp8 v[200:203], a[98:99], v[134:135], v[200:203]// 000000006120: D3F300C8 0F230D62
	buffer_load_dwordx4 a[16:19], v39, s[12:15], 0 offen       // 000000006128: E05C1000 80831027
	v_mfma_f32_16x16x32_fp8_fp8 v[204:207], a[96:97], v[152:153], v[204:207]// 000000006130: D3F300CC 0F333160
	v_mfma_f32_16x16x32_fp8_fp8 v[204:207], a[98:99], v[154:155], v[204:207]// 000000006138: D3F300CC 0F333562
	v_mfma_f32_16x16x32_fp8_fp8 v[208:211], a[100:101], v[132:133], v[208:211]// 000000006140: D3F300D0 0F430964
	v_mfma_f32_16x16x32_fp8_fp8 v[208:211], a[102:103], v[134:135], v[208:211]// 000000006148: D3F300D0 0F430D66
	buffer_load_dwordx4 a[20:23], v40, s[12:15], 0 offen       // 000000006150: E05C1000 80831428
	v_mfma_f32_16x16x32_fp8_fp8 v[212:215], a[100:101], v[152:153], v[212:215]// 000000006158: D3F300D4 0F533164
	v_mfma_f32_16x16x32_fp8_fp8 v[212:215], a[102:103], v[154:155], v[212:215]// 000000006160: D3F300D4 0F533566
	v_mfma_f32_16x16x32_fp8_fp8 v[216:219], a[104:105], v[132:133], v[216:219]// 000000006168: D3F300D8 0F630968
	v_mfma_f32_16x16x32_fp8_fp8 v[216:219], a[106:107], v[134:135], v[216:219]// 000000006170: D3F300D8 0F630D6A
	buffer_load_dwordx4 a[24:27], v41, s[12:15], 0 offen       // 000000006178: E05C1000 80831829
	v_mfma_f32_16x16x32_fp8_fp8 v[220:223], a[104:105], v[152:153], v[220:223]// 000000006180: D3F300DC 0F733168
	v_mfma_f32_16x16x32_fp8_fp8 v[220:223], a[106:107], v[154:155], v[220:223]// 000000006188: D3F300DC 0F73356A
	v_mfma_f32_16x16x32_fp8_fp8 v[224:227], a[108:109], v[132:133], v[224:227]// 000000006190: D3F300E0 0F83096C
	v_mfma_f32_16x16x32_fp8_fp8 v[224:227], a[110:111], v[134:135], v[224:227]// 000000006198: D3F300E0 0F830D6E
	buffer_load_dwordx4 a[28:31], v42, s[12:15], 0 offen       // 0000000061A0: E05C1000 80831C2A
	s_add_u32 s12, s78, s12                                    // 0000000061A8: 800C0C4E
	s_addc_u32 s13, 0, s13                                     // 0000000061AC: 820D0D80
	v_mfma_f32_16x16x32_fp8_fp8 v[228:231], a[108:109], v[152:153], v[228:231]// 0000000061B0: D3F300E4 0F93316C
	v_mfma_f32_16x16x32_fp8_fp8 v[228:231], a[110:111], v[154:155], v[228:231]// 0000000061B8: D3F300E4 0F93356E
	s_waitcnt vmcnt(33)                                        // 0000000061C0: BF8C8F71
	v_mfma_f32_16x16x32_fp8_fp8 v[200:203], a[112:113], v[136:137], v[200:203]// 0000000061C4: D3F300C8 0F231170
	v_mfma_f32_16x16x32_fp8_fp8 v[200:203], a[114:115], v[138:139], v[200:203]// 0000000061CC: D3F300C8 0F231572
	buffer_load_dwordx4 a[32:35], v39, s[12:15], 0 offen       // 0000000061D4: E05C1000 80832027
	v_mfma_f32_16x16x32_fp8_fp8 v[204:207], a[112:113], v[156:157], v[204:207]// 0000000061DC: D3F300CC 0F333970
	v_mfma_f32_16x16x32_fp8_fp8 v[204:207], a[114:115], v[158:159], v[204:207]// 0000000061E4: D3F300CC 0F333D72
	v_mfma_f32_16x16x32_fp8_fp8 v[208:211], a[116:117], v[136:137], v[208:211]// 0000000061EC: D3F300D0 0F431174
	v_mfma_f32_16x16x32_fp8_fp8 v[208:211], a[118:119], v[138:139], v[208:211]// 0000000061F4: D3F300D0 0F431576
	buffer_load_dwordx4 a[36:39], v40, s[12:15], 0 offen       // 0000000061FC: E05C1000 80832428
	v_mfma_f32_16x16x32_fp8_fp8 v[212:215], a[116:117], v[156:157], v[212:215]// 000000006204: D3F300D4 0F533974
	v_mfma_f32_16x16x32_fp8_fp8 v[212:215], a[118:119], v[158:159], v[212:215]// 00000000620C: D3F300D4 0F533D76
	v_mfma_f32_16x16x32_fp8_fp8 v[216:219], a[120:121], v[136:137], v[216:219]// 000000006214: D3F300D8 0F631178
	v_mfma_f32_16x16x32_fp8_fp8 v[216:219], a[122:123], v[138:139], v[216:219]// 00000000621C: D3F300D8 0F63157A
	buffer_load_dwordx4 a[40:43], v41, s[12:15], 0 offen       // 000000006224: E05C1000 80832829
	v_mfma_f32_16x16x32_fp8_fp8 v[220:223], a[120:121], v[156:157], v[220:223]// 00000000622C: D3F300DC 0F733978
	v_mfma_f32_16x16x32_fp8_fp8 v[220:223], a[122:123], v[158:159], v[220:223]// 000000006234: D3F300DC 0F733D7A
	v_mfma_f32_16x16x32_fp8_fp8 v[224:227], a[124:125], v[136:137], v[224:227]// 00000000623C: D3F300E0 0F83117C
	v_mfma_f32_16x16x32_fp8_fp8 v[224:227], a[126:127], v[138:139], v[224:227]// 000000006244: D3F300E0 0F83157E
	buffer_load_dwordx4 a[44:47], v42, s[12:15], 0 offen       // 00000000624C: E05C1000 80832C2A
	s_add_u32 s12, s78, s12                                    // 000000006254: 800C0C4E
	s_addc_u32 s13, 0, s13                                     // 000000006258: 820D0D80
	v_mfma_f32_16x16x32_fp8_fp8 v[228:231], a[124:125], v[156:157], v[228:231]// 00000000625C: D3F300E4 0F93397C
	v_mfma_f32_16x16x32_fp8_fp8 v[228:231], a[126:127], v[158:159], v[228:231]// 000000006264: D3F300E4 0F933D7E
	s_waitcnt vmcnt(33)                                        // 00000000626C: BF8C8F71
	v_mfma_f32_16x16x32_fp8_fp8 v[200:203], a[128:129], v[140:141], v[200:203]// 000000006270: D3F300C8 0F231980
	v_mfma_f32_16x16x32_fp8_fp8 v[200:203], a[130:131], v[142:143], v[200:203]// 000000006278: D3F300C8 0F231D82
	buffer_load_dwordx4 a[48:51], v39, s[12:15], 0 offen       // 000000006280: E05C1000 80833027
	v_mfma_f32_16x16x32_fp8_fp8 v[204:207], a[128:129], v[160:161], v[204:207]// 000000006288: D3F300CC 0F334180
	v_mfma_f32_16x16x32_fp8_fp8 v[204:207], a[130:131], v[162:163], v[204:207]// 000000006290: D3F300CC 0F334582
	v_mfma_f32_16x16x32_fp8_fp8 v[208:211], a[132:133], v[140:141], v[208:211]// 000000006298: D3F300D0 0F431984
	v_mfma_f32_16x16x32_fp8_fp8 v[208:211], a[134:135], v[142:143], v[208:211]// 0000000062A0: D3F300D0 0F431D86
	buffer_load_dwordx4 a[52:55], v40, s[12:15], 0 offen       // 0000000062A8: E05C1000 80833428
	v_mfma_f32_16x16x32_fp8_fp8 v[212:215], a[132:133], v[160:161], v[212:215]// 0000000062B0: D3F300D4 0F534184
	v_mfma_f32_16x16x32_fp8_fp8 v[212:215], a[134:135], v[162:163], v[212:215]// 0000000062B8: D3F300D4 0F534586
	v_mfma_f32_16x16x32_fp8_fp8 v[216:219], a[136:137], v[140:141], v[216:219]// 0000000062C0: D3F300D8 0F631988
	v_mfma_f32_16x16x32_fp8_fp8 v[216:219], a[138:139], v[142:143], v[216:219]// 0000000062C8: D3F300D8 0F631D8A
	buffer_load_dwordx4 a[56:59], v41, s[12:15], 0 offen       // 0000000062D0: E05C1000 80833829
	v_mfma_f32_16x16x32_fp8_fp8 v[220:223], a[136:137], v[160:161], v[220:223]// 0000000062D8: D3F300DC 0F734188
	v_mfma_f32_16x16x32_fp8_fp8 v[220:223], a[138:139], v[162:163], v[220:223]// 0000000062E0: D3F300DC 0F73458A
	v_mfma_f32_16x16x32_fp8_fp8 v[224:227], a[140:141], v[140:141], v[224:227]// 0000000062E8: D3F300E0 0F83198C
	v_mfma_f32_16x16x32_fp8_fp8 v[224:227], a[142:143], v[142:143], v[224:227]// 0000000062F0: D3F300E0 0F831D8E
	buffer_load_dwordx4 a[60:63], v42, s[12:15], 0 offen       // 0000000062F8: E05C1000 80833C2A
	s_add_u32 s12, s78, s12                                    // 000000006300: 800C0C4E
	s_addc_u32 s13, 0, s13                                     // 000000006304: 820D0D80
	v_mfma_f32_16x16x32_fp8_fp8 v[228:231], a[140:141], v[160:161], v[228:231]// 000000006308: D3F300E4 0F93418C
	v_mfma_f32_16x16x32_fp8_fp8 v[228:231], a[142:143], v[162:163], v[228:231]// 000000006310: D3F300E4 0F93458E
	s_waitcnt vmcnt(32)                                        // 000000006318: BF8C8F70
	v_mfma_f32_16x16x32_fp8_fp8 v[200:203], a[144:145], v[144:145], v[200:203]// 00000000631C: D3F300C8 0F232190
	v_mfma_f32_16x16x32_fp8_fp8 v[200:203], a[146:147], v[146:147], v[200:203]// 000000006324: D3F300C8 0F232592
	buffer_load_dwordx4 a[64:67], v39, s[12:15], 0 offen       // 00000000632C: E05C1000 80834027
	v_mfma_f32_16x16x32_fp8_fp8 v[204:207], a[144:145], v[164:165], v[204:207]// 000000006334: D3F300CC 0F334990
	v_mfma_f32_16x16x32_fp8_fp8 v[204:207], a[146:147], v[166:167], v[204:207]// 00000000633C: D3F300CC 0F334D92
	buffer_load_dword v12, v5, s[16:19], 0 offen               // 000000006344: E0501000 80040C05
	v_mfma_f32_16x16x32_fp8_fp8 v[208:211], a[148:149], v[144:145], v[208:211]// 00000000634C: D3F300D0 0F432194
	v_mfma_f32_16x16x32_fp8_fp8 v[208:211], a[150:151], v[146:147], v[208:211]// 000000006354: D3F300D0 0F432596
	buffer_load_dwordx4 a[68:71], v40, s[12:15], 0 offen       // 00000000635C: E05C1000 80834428
	v_mfma_f32_16x16x32_fp8_fp8 v[212:215], a[148:149], v[164:165], v[212:215]// 000000006364: D3F300D4 0F534994
	v_mfma_f32_16x16x32_fp8_fp8 v[212:215], a[150:151], v[166:167], v[212:215]// 00000000636C: D3F300D4 0F534D96
	v_mfma_f32_16x16x32_fp8_fp8 v[216:219], a[152:153], v[144:145], v[216:219]// 000000006374: D3F300D8 0F632198
	v_mfma_f32_16x16x32_fp8_fp8 v[216:219], a[154:155], v[146:147], v[216:219]// 00000000637C: D3F300D8 0F63259A
	buffer_load_dwordx4 a[72:75], v41, s[12:15], 0 offen       // 000000006384: E05C1000 80834829
	v_mfma_f32_16x16x32_fp8_fp8 v[220:223], a[152:153], v[164:165], v[220:223]// 00000000638C: D3F300DC 0F734998
	v_mfma_f32_16x16x32_fp8_fp8 v[220:223], a[154:155], v[166:167], v[220:223]// 000000006394: D3F300DC 0F734D9A
	v_mfma_f32_16x16x32_fp8_fp8 v[224:227], a[156:157], v[144:145], v[224:227]// 00000000639C: D3F300E0 0F83219C
	v_mfma_f32_16x16x32_fp8_fp8 v[224:227], a[158:159], v[146:147], v[224:227]// 0000000063A4: D3F300E0 0F83259E
	buffer_load_dwordx4 a[76:79], v42, s[12:15], 0 offen       // 0000000063AC: E05C1000 80834C2A
	v_mfma_f32_16x16x32_fp8_fp8 v[228:231], a[156:157], v[164:165], v[228:231]// 0000000063B4: D3F300E4 0F93499C
	v_mfma_f32_16x16x32_fp8_fp8 v[228:231], a[158:159], v[166:167], v[228:231]// 0000000063BC: D3F300E4 0F934D9E
	s_add_u32 s60, 0x200, s80                                  // 0000000063C4: 803C50FF 00000200
	s_cmp_lt_u32 s60, s81                                      // 0000000063CC: BF0A513C
	s_cselect_b32 s56, s56, 0                                  // 0000000063D0: 85388038
	s_cselect_b32 s78, s78, 0                                  // 0000000063D4: 854E804E
	s_cselect_b32 s79, s79, 0                                  // 0000000063D8: 854F804F
	s_add_u32 s12, s56, s12                                    // 0000000063DC: 800C0C38
	s_addc_u32 s13, 0, s13                                     // 0000000063E0: 820D0D80
	s_add_u32 s16, s79, s16                                    // 0000000063E4: 8010104F
	s_addc_u32 s17, 0, s17                                     // 0000000063E8: 82111180
	v_mul_f32_e32 v200, v24, v200                              // 0000000063EC: 0B919118
	v_mul_f32_e32 v201, v24, v201                              // 0000000063F0: 0B939318
	v_mul_f32_e32 v202, v24, v202                              // 0000000063F4: 0B959518
	v_mul_f32_e32 v203, v24, v203                              // 0000000063F8: 0B979718
	v_mul_f32_dpp v200, v13, v200 row_newbcast:0 row_mask:0xf bank_mask:0xf// 0000000063FC: 0B9190FA FF01500D
	v_mul_f32_dpp v201, v13, v201 row_newbcast:1 row_mask:0xf bank_mask:0xf// 000000006404: 0B9392FA FF01510D
	v_mul_f32_dpp v202, v13, v202 row_newbcast:2 row_mask:0xf bank_mask:0xf// 00000000640C: 0B9594FA FF01520D
	v_mul_f32_dpp v203, v13, v203 row_newbcast:3 row_mask:0xf bank_mask:0xf// 000000006414: 0B9796FA FF01530D
	v_mul_f32_e32 v200, v20, v200                              // 00000000641C: 0B919114
	v_mul_f32_e32 v201, v20, v201                              // 000000006420: 0B939314
	v_mul_f32_e32 v202, v20, v202                              // 000000006424: 0B959514
	v_mul_f32_e32 v203, v20, v203                              // 000000006428: 0B979714
	v_mul_f32_e32 v204, v25, v204                              // 00000000642C: 0B999919
	v_mul_f32_e32 v205, v25, v205                              // 000000006430: 0B9B9B19
	v_mul_f32_e32 v206, v25, v206                              // 000000006434: 0B9D9D19
	v_mul_f32_e32 v207, v25, v207                              // 000000006438: 0B9F9F19
	v_mul_f32_dpp v204, v13, v204 row_newbcast:0 row_mask:0xf bank_mask:0xf// 00000000643C: 0B9998FA FF01500D
	v_mul_f32_dpp v205, v13, v205 row_newbcast:1 row_mask:0xf bank_mask:0xf// 000000006444: 0B9B9AFA FF01510D
	v_mul_f32_dpp v206, v13, v206 row_newbcast:2 row_mask:0xf bank_mask:0xf// 00000000644C: 0B9D9CFA FF01520D
	v_mul_f32_dpp v207, v13, v207 row_newbcast:3 row_mask:0xf bank_mask:0xf// 000000006454: 0B9F9EFA FF01530D
	v_mul_f32_e32 v204, v21, v204                              // 00000000645C: 0B999915
	v_mul_f32_e32 v205, v21, v205                              // 000000006460: 0B9B9B15
	v_mul_f32_e32 v206, v21, v206                              // 000000006464: 0B9D9D15
	v_mul_f32_e32 v207, v21, v207                              // 000000006468: 0B9F9F15
	v_mul_f32_e32 v208, v24, v208                              // 00000000646C: 0BA1A118
	v_mul_f32_e32 v209, v24, v209                              // 000000006470: 0BA3A318
	v_mul_f32_e32 v210, v24, v210                              // 000000006474: 0BA5A518
	v_mul_f32_e32 v211, v24, v211                              // 000000006478: 0BA7A718
	v_mul_f32_dpp v208, v13, v208 row_newbcast:4 row_mask:0xf bank_mask:0xf// 00000000647C: 0BA1A0FA FF01540D
	v_mul_f32_dpp v209, v13, v209 row_newbcast:5 row_mask:0xf bank_mask:0xf// 000000006484: 0BA3A2FA FF01550D
	v_mul_f32_dpp v210, v13, v210 row_newbcast:6 row_mask:0xf bank_mask:0xf// 00000000648C: 0BA5A4FA FF01560D
	v_mul_f32_dpp v211, v13, v211 row_newbcast:7 row_mask:0xf bank_mask:0xf// 000000006494: 0BA7A6FA FF01570D
	v_mul_f32_e32 v208, v20, v208                              // 00000000649C: 0BA1A114
	v_mul_f32_e32 v209, v20, v209                              // 0000000064A0: 0BA3A314
	v_mul_f32_e32 v210, v20, v210                              // 0000000064A4: 0BA5A514
	v_mul_f32_e32 v211, v20, v211                              // 0000000064A8: 0BA7A714
	v_mul_f32_e32 v212, v25, v212                              // 0000000064AC: 0BA9A919
	v_mul_f32_e32 v213, v25, v213                              // 0000000064B0: 0BABAB19
	v_mul_f32_e32 v214, v25, v214                              // 0000000064B4: 0BADAD19
	v_mul_f32_e32 v215, v25, v215                              // 0000000064B8: 0BAFAF19
	v_mul_f32_dpp v212, v13, v212 row_newbcast:4 row_mask:0xf bank_mask:0xf// 0000000064BC: 0BA9A8FA FF01540D
	v_mul_f32_dpp v213, v13, v213 row_newbcast:5 row_mask:0xf bank_mask:0xf// 0000000064C4: 0BABAAFA FF01550D
	v_mul_f32_dpp v214, v13, v214 row_newbcast:6 row_mask:0xf bank_mask:0xf// 0000000064CC: 0BADACFA FF01560D
	v_mul_f32_dpp v215, v13, v215 row_newbcast:7 row_mask:0xf bank_mask:0xf// 0000000064D4: 0BAFAEFA FF01570D
	v_mul_f32_e32 v212, v21, v212                              // 0000000064DC: 0BA9A915
	v_mul_f32_e32 v213, v21, v213                              // 0000000064E0: 0BABAB15
	v_mul_f32_e32 v214, v21, v214                              // 0000000064E4: 0BADAD15
	v_mul_f32_e32 v215, v21, v215                              // 0000000064E8: 0BAFAF15
	v_mul_f32_e32 v216, v24, v216                              // 0000000064EC: 0BB1B118
	v_mul_f32_e32 v217, v24, v217                              // 0000000064F0: 0BB3B318
	v_mul_f32_e32 v218, v24, v218                              // 0000000064F4: 0BB5B518
	v_mul_f32_e32 v219, v24, v219                              // 0000000064F8: 0BB7B718
	v_mul_f32_dpp v216, v13, v216 row_newbcast:8 row_mask:0xf bank_mask:0xf// 0000000064FC: 0BB1B0FA FF01580D
	v_mul_f32_dpp v217, v13, v217 row_newbcast:9 row_mask:0xf bank_mask:0xf// 000000006504: 0BB3B2FA FF01590D
	v_mul_f32_dpp v218, v13, v218 row_newbcast:10 row_mask:0xf bank_mask:0xf// 00000000650C: 0BB5B4FA FF015A0D
	v_mul_f32_dpp v219, v13, v219 row_newbcast:11 row_mask:0xf bank_mask:0xf// 000000006514: 0BB7B6FA FF015B0D
	v_mul_f32_e32 v216, v20, v216                              // 00000000651C: 0BB1B114
	v_mul_f32_e32 v217, v20, v217                              // 000000006520: 0BB3B314
	v_mul_f32_e32 v218, v20, v218                              // 000000006524: 0BB5B514
	v_mul_f32_e32 v219, v20, v219                              // 000000006528: 0BB7B714
	v_mul_f32_e32 v220, v25, v220                              // 00000000652C: 0BB9B919
	v_mul_f32_e32 v221, v25, v221                              // 000000006530: 0BBBBB19
	v_mul_f32_e32 v222, v25, v222                              // 000000006534: 0BBDBD19
	v_mul_f32_e32 v223, v25, v223                              // 000000006538: 0BBFBF19
	v_mul_f32_dpp v220, v13, v220 row_newbcast:8 row_mask:0xf bank_mask:0xf// 00000000653C: 0BB9B8FA FF01580D
	v_mul_f32_dpp v221, v13, v221 row_newbcast:9 row_mask:0xf bank_mask:0xf// 000000006544: 0BBBBAFA FF01590D
	v_mul_f32_dpp v222, v13, v222 row_newbcast:10 row_mask:0xf bank_mask:0xf// 00000000654C: 0BBDBCFA FF015A0D
	v_mul_f32_dpp v223, v13, v223 row_newbcast:11 row_mask:0xf bank_mask:0xf// 000000006554: 0BBFBEFA FF015B0D
	v_mul_f32_e32 v220, v21, v220                              // 00000000655C: 0BB9B915
	v_mul_f32_e32 v221, v21, v221                              // 000000006560: 0BBBBB15
	v_mul_f32_e32 v222, v21, v222                              // 000000006564: 0BBDBD15
	v_mul_f32_e32 v223, v21, v223                              // 000000006568: 0BBFBF15
	v_mul_f32_e32 v224, v24, v224                              // 00000000656C: 0BC1C118
	v_mul_f32_e32 v225, v24, v225                              // 000000006570: 0BC3C318
	v_mul_f32_e32 v226, v24, v226                              // 000000006574: 0BC5C518
	v_mul_f32_e32 v227, v24, v227                              // 000000006578: 0BC7C718
	v_mul_f32_dpp v224, v13, v224 row_newbcast:12 row_mask:0xf bank_mask:0xf// 00000000657C: 0BC1C0FA FF015C0D
	v_mul_f32_dpp v225, v13, v225 row_newbcast:13 row_mask:0xf bank_mask:0xf// 000000006584: 0BC3C2FA FF015D0D
	v_mul_f32_dpp v226, v13, v226 row_newbcast:14 row_mask:0xf bank_mask:0xf// 00000000658C: 0BC5C4FA FF015E0D
	v_mul_f32_dpp v227, v13, v227 row_newbcast:15 row_mask:0xf bank_mask:0xf// 000000006594: 0BC7C6FA FF015F0D
	v_mul_f32_e32 v224, v20, v224                              // 00000000659C: 0BC1C114
	v_mul_f32_e32 v225, v20, v225                              // 0000000065A0: 0BC3C314
	v_mul_f32_e32 v226, v20, v226                              // 0000000065A4: 0BC5C514
	v_mul_f32_e32 v227, v20, v227                              // 0000000065A8: 0BC7C714
	v_mul_f32_e32 v228, v25, v228                              // 0000000065AC: 0BC9C919
	v_mul_f32_e32 v229, v25, v229                              // 0000000065B0: 0BCBCB19
	v_mul_f32_e32 v230, v25, v230                              // 0000000065B4: 0BCDCD19
	v_mul_f32_e32 v231, v25, v231                              // 0000000065B8: 0BCFCF19
	v_mul_f32_dpp v228, v13, v228 row_newbcast:12 row_mask:0xf bank_mask:0xf// 0000000065BC: 0BC9C8FA FF015C0D
	v_mul_f32_dpp v229, v13, v229 row_newbcast:13 row_mask:0xf bank_mask:0xf// 0000000065C4: 0BCBCAFA FF015D0D
	v_mul_f32_dpp v230, v13, v230 row_newbcast:14 row_mask:0xf bank_mask:0xf// 0000000065CC: 0BCDCCFA FF015E0D
	v_mul_f32_dpp v231, v13, v231 row_newbcast:15 row_mask:0xf bank_mask:0xf// 0000000065D4: 0BCFCEFA FF015F0D
	v_mul_f32_e32 v228, v21, v228                              // 0000000065DC: 0BC9C915
	v_mul_f32_e32 v229, v21, v229                              // 0000000065E0: 0BCBCB15
	v_mul_f32_e32 v230, v21, v230                              // 0000000065E4: 0BCDCD15
	v_mul_f32_e32 v231, v21, v231                              // 0000000065E8: 0BCFCF15
	v_cvt_pkrtz_f16_f32 v200, v200, v201                       // 0000000065EC: D29600C8 000393C8
	v_cvt_pkrtz_f16_f32 v201, v202, v203                       // 0000000065F4: D29600C9 000397CA
	v_cvt_pkrtz_f16_f32 v202, v204, v205                       // 0000000065FC: D29600CA 00039BCC
	v_cvt_pkrtz_f16_f32 v203, v206, v207                       // 000000006604: D29600CB 00039FCE
	v_cvt_pkrtz_f16_f32 v204, v208, v209                       // 00000000660C: D29600CC 0003A3D0
	v_cvt_pkrtz_f16_f32 v205, v210, v211                       // 000000006614: D29600CD 0003A7D2
	v_cvt_pkrtz_f16_f32 v206, v212, v213                       // 00000000661C: D29600CE 0003ABD4
	v_cvt_pkrtz_f16_f32 v207, v214, v215                       // 000000006624: D29600CF 0003AFD6
	v_cvt_pkrtz_f16_f32 v208, v216, v217                       // 00000000662C: D29600D0 0003B3D8
	v_cvt_pkrtz_f16_f32 v209, v218, v219                       // 000000006634: D29600D1 0003B7DA
	v_cvt_pkrtz_f16_f32 v210, v220, v221                       // 00000000663C: D29600D2 0003BBDC
	v_cvt_pkrtz_f16_f32 v211, v222, v223                       // 000000006644: D29600D3 0003BFDE
	v_cvt_pkrtz_f16_f32 v212, v224, v225                       // 00000000664C: D29600D4 0003C3E0
	v_cvt_pkrtz_f16_f32 v213, v226, v227                       // 000000006654: D29600D5 0003C7E2
	v_cvt_pkrtz_f16_f32 v214, v228, v229                       // 00000000665C: D29600D6 0003CBE4
	v_cvt_pkrtz_f16_f32 v215, v230, v231                       // 000000006664: D29600D7 0003CFE6
	ds_write_b64 v3, v[200:201] offset:28928                   // 00000000666C: D89A7100 0000C803
	ds_write_b64 v3, v[202:203] offset:37632                   // 000000006674: D89A9300 0000CA03
	ds_write_b64 v3, v[204:205] offset:31104                   // 00000000667C: D89A7980 0000CC03
	ds_write_b64 v3, v[206:207] offset:39808                   // 000000006684: D89A9B80 0000CE03
	ds_write_b64 v3, v[208:209] offset:33280                   // 00000000668C: D89A8200 0000D003
	ds_write_b64 v3, v[210:211] offset:41984                   // 000000006694: D89AA400 0000D203
	ds_write_b64 v3, v[212:213] offset:35456                   // 00000000669C: D89A8A80 0000D403
	ds_write_b64 v3, v[214:215] offset:44160                   // 0000000066A4: D89AAC80 0000D603
	s_waitcnt lgkmcnt(0)                                       // 0000000066AC: BF8CC07F
	s_barrier                                                  // 0000000066B0: BF8A0000
	ds_read_b32 v64, v4 offset:28928                           // 0000000066B4: D86C7100 40000004
	ds_read_b32 v65, v4 offset:33280                           // 0000000066BC: D86C8200 41000004
	ds_read_b32 v66, v4 offset:28960                           // 0000000066C4: D86C7120 42000004
	ds_read_b32 v67, v4 offset:33312                           // 0000000066CC: D86C8220 43000004
	ds_read_b32 v68, v4 offset:28992                           // 0000000066D4: D86C7140 44000004
	ds_read_b32 v69, v4 offset:33344                           // 0000000066DC: D86C8240 45000004
	ds_read_b32 v70, v4 offset:29024                           // 0000000066E4: D86C7160 46000004
	ds_read_b32 v71, v4 offset:33376                           // 0000000066EC: D86C8260 47000004
	ds_read_b32 v72, v4 offset:37632                           // 0000000066F4: D86C9300 48000004
	ds_read_b32 v73, v4 offset:41984                           // 0000000066FC: D86CA400 49000004
	ds_read_b32 v74, v4 offset:37664                           // 000000006704: D86C9320 4A000004
	ds_read_b32 v75, v4 offset:42016                           // 00000000670C: D86CA420 4B000004
	ds_read_b32 v76, v4 offset:37696                           // 000000006714: D86C9340 4C000004
	ds_read_b32 v77, v4 offset:42048                           // 00000000671C: D86CA440 4D000004
	ds_read_b32 v78, v4 offset:37728                           // 000000006724: D86C9360 4E000004
	ds_read_b32 v79, v4 offset:42080                           // 00000000672C: D86CA460 4F000004
	s_waitcnt lgkmcnt(0)                                       // 000000006734: BF8CC07F
	s_mov_b64 exec, s[20:21]                                   // 000000006738: BEFE0114
	global_atomic_pk_add_f16 v80, v64, s[8:9]                  // 00000000673C: DD388000 00084050
	s_mov_b64 exec, s[36:37]                                   // 000000006744: BEFE0124
	s_mov_b64 exec, s[20:21]                                   // 000000006748: BEFE0114
	global_atomic_pk_add_f16 v80, v65, s[8:9] offset:256       // 00000000674C: DD388100 00084150
	s_mov_b64 exec, s[36:37]                                   // 000000006754: BEFE0124
	s_mov_b64 exec, s[22:23]                                   // 000000006758: BEFE0116
	global_atomic_pk_add_f16 v82, v66, s[8:9]                  // 00000000675C: DD388000 00084252
	s_mov_b64 exec, s[36:37]                                   // 000000006764: BEFE0124
	s_mov_b64 exec, s[22:23]                                   // 000000006768: BEFE0116
	global_atomic_pk_add_f16 v82, v67, s[8:9] offset:256       // 00000000676C: DD388100 00084352
	s_mov_b64 exec, s[36:37]                                   // 000000006774: BEFE0124
	s_mov_b64 exec, s[24:25]                                   // 000000006778: BEFE0118
	global_atomic_pk_add_f16 v84, v68, s[8:9]                  // 00000000677C: DD388000 00084454
	s_mov_b64 exec, s[36:37]                                   // 000000006784: BEFE0124
	s_mov_b64 exec, s[24:25]                                   // 000000006788: BEFE0118
	global_atomic_pk_add_f16 v84, v69, s[8:9] offset:256       // 00000000678C: DD388100 00084554
	s_mov_b64 exec, s[36:37]                                   // 000000006794: BEFE0124
	s_mov_b64 exec, s[26:27]                                   // 000000006798: BEFE011A
	global_atomic_pk_add_f16 v86, v70, s[8:9]                  // 00000000679C: DD388000 00084656
	s_mov_b64 exec, s[36:37]                                   // 0000000067A4: BEFE0124
	s_mov_b64 exec, s[26:27]                                   // 0000000067A8: BEFE011A
	global_atomic_pk_add_f16 v86, v71, s[8:9] offset:256       // 0000000067AC: DD388100 00084756
	s_mov_b64 exec, s[36:37]                                   // 0000000067B4: BEFE0124
	s_mov_b64 exec, s[28:29]                                   // 0000000067B8: BEFE011C
	global_atomic_pk_add_f16 v88, v72, s[8:9]                  // 0000000067BC: DD388000 00084858
	s_mov_b64 exec, s[36:37]                                   // 0000000067C4: BEFE0124
	s_mov_b64 exec, s[28:29]                                   // 0000000067C8: BEFE011C
	global_atomic_pk_add_f16 v88, v73, s[8:9] offset:256       // 0000000067CC: DD388100 00084958
	s_mov_b64 exec, s[36:37]                                   // 0000000067D4: BEFE0124
	s_mov_b64 exec, s[30:31]                                   // 0000000067D8: BEFE011E
	global_atomic_pk_add_f16 v90, v74, s[8:9]                  // 0000000067DC: DD388000 00084A5A
	s_mov_b64 exec, s[36:37]                                   // 0000000067E4: BEFE0124
	s_mov_b64 exec, s[30:31]                                   // 0000000067E8: BEFE011E
	global_atomic_pk_add_f16 v90, v75, s[8:9] offset:256       // 0000000067EC: DD388100 00084B5A
	s_mov_b64 exec, s[36:37]                                   // 0000000067F4: BEFE0124
	s_mov_b64 exec, s[32:33]                                   // 0000000067F8: BEFE0120
	global_atomic_pk_add_f16 v92, v76, s[8:9]                  // 0000000067FC: DD388000 00084C5C
	s_mov_b64 exec, s[36:37]                                   // 000000006804: BEFE0124
	s_mov_b64 exec, s[32:33]                                   // 000000006808: BEFE0120
	global_atomic_pk_add_f16 v92, v77, s[8:9] offset:256       // 00000000680C: DD388100 00084D5C
	s_mov_b64 exec, s[36:37]                                   // 000000006814: BEFE0124
	s_mov_b64 exec, s[34:35]                                   // 000000006818: BEFE0122
	global_atomic_pk_add_f16 v94, v78, s[8:9]                  // 00000000681C: DD388000 00084E5E
	s_mov_b64 exec, s[36:37]                                   // 000000006824: BEFE0124
	s_mov_b64 exec, s[34:35]                                   // 000000006828: BEFE0122
	global_atomic_pk_add_f16 v94, v79, s[8:9] offset:256       // 00000000682C: DD388100 00084F5E
	s_mov_b64 exec, s[36:37]                                   // 000000006834: BEFE0124
	s_add_u32 s8, s59, s8                                      // 000000006838: 8008083B
	s_addc_u32 s9, 0, s9                                       // 00000000683C: 82090980
	s_addk_i32 s80, 0x100                                      // 000000006840: B7500100
	s_cmp_lt_i32 s80, s81                                      // 000000006844: BF045150
	s_cbranch_scc0 label_0E94                                  // 000000006848: BF840001
	s_branch label_0A9F                                        // 00000000684C: BF82FC0B

0000000000006850 <label_0E94>:
	s_nop 0                                                    // 000000006850: BF800000
	s_nop 0                                                    // 000000006854: BF800000
	s_branch label_1A52                                        // 000000006858: BF820BBB

000000000000685c <label_0E97>:
	s_waitcnt vmcnt(12) lgkmcnt(0)                             // 00000000685C: BF8C007C
	s_barrier                                                  // 000000006860: BF8A0000
	v_mfma_f32_16x16x32_fp8_fp8 v[128:131], a[0:1], v[168:169], v[128:131]// 000000006864: D3F30080 0E035100
	buffer_load_dwordx4 a[80:83], v34, s[92:95], 0 offen       // 00000000686C: E05C1000 80975022
	v_mfma_f32_16x16x32_fp8_fp8 v[128:131], a[2:3], v[170:171], v[128:131]// 000000006874: D3F30080 0E035502
	v_mfma_f32_16x16x32_fp8_fp8 v[128:131], a[4:5], v[172:173], v[128:131]// 00000000687C: D3F30080 0E035904
	buffer_load_dword v26, s[20:23], 0 offen lds               // 000000006884: E0511000 8005001A
	s_add_u32 m0, 0x100, s51                                   // 00000000688C: 807C33FF 00000100
	v_mfma_f32_16x16x32_fp8_fp8 v[128:131], a[6:7], v[174:175], v[128:131]// 000000006894: D3F30080 0E035D06
	v_mfma_f32_16x16x32_fp8_fp8 v[128:131], a[8:9], v[176:177], v[128:131]// 00000000689C: D3F30080 0E036108
	buffer_load_dwordx4 a[84:87], v34, s[92:95], 0 offen offset:1024// 0000000068A4: E05C1400 80975422
	v_mfma_f32_16x16x32_fp8_fp8 v[128:131], a[10:11], v[178:179], v[128:131]// 0000000068AC: D3F30080 0E03650A
	v_mfma_f32_16x16x32_fp8_fp8 v[128:131], a[12:13], v[180:181], v[128:131]// 0000000068B4: D3F30080 0E03690C
	buffer_load_dword v27, s[20:23], 0 offen lds               // 0000000068BC: E0511000 8005001B
	s_add_u32 m0, 0x200, s51                                   // 0000000068C4: 807C33FF 00000200
	v_mfma_f32_16x16x32_fp8_fp8 v[128:131], a[14:15], v[182:183], v[128:131]// 0000000068CC: D3F30080 0E036D0E
	v_mfma_f32_16x16x32_fp8_fp8 v[132:135], a[0:1], v[184:185], v[132:135]// 0000000068D4: D3F30084 0E137100
	buffer_load_dwordx4 a[88:91], v34, s[92:95], 0 offen offset:2048// 0000000068DC: E05C1800 80975822
	v_mfma_f32_16x16x32_fp8_fp8 v[132:135], a[2:3], v[186:187], v[132:135]// 0000000068E4: D3F30084 0E137502
	v_mfma_f32_16x16x32_fp8_fp8 v[132:135], a[4:5], v[188:189], v[132:135]// 0000000068EC: D3F30084 0E137904
	buffer_load_dword v28, s[20:23], 0 offen lds               // 0000000068F4: E0511000 8005001C
	s_add_u32 m0, 0x300, s51                                   // 0000000068FC: 807C33FF 00000300
	v_mfma_f32_16x16x32_fp8_fp8 v[132:135], a[6:7], v[190:191], v[132:135]// 000000006904: D3F30084 0E137D06
	v_mfma_f32_16x16x32_fp8_fp8 v[132:135], a[8:9], v[192:193], v[132:135]// 00000000690C: D3F30084 0E138108
	buffer_load_dwordx4 a[92:95], v34, s[92:95], 0 offen offset:3072// 000000006914: E05C1C00 80975C22
	v_mfma_f32_16x16x32_fp8_fp8 v[132:135], a[10:11], v[194:195], v[132:135]// 00000000691C: D3F30084 0E13850A
	v_mfma_f32_16x16x32_fp8_fp8 v[132:135], a[12:13], v[196:197], v[132:135]// 000000006924: D3F30084 0E13890C
	buffer_load_dword v29, s[20:23], 0 offen lds               // 00000000692C: E0511000 8005001D
	s_add_u32 m0, 0x400, s51                                   // 000000006934: 807C33FF 00000400
	v_mfma_f32_16x16x32_fp8_fp8 v[132:135], a[14:15], v[198:199], v[132:135]// 00000000693C: D3F30084 0E138D0E
	v_mfma_f32_16x16x32_fp8_fp8 v[136:139], a[16:17], v[168:169], v[136:139]// 000000006944: D3F30088 0E235110
	buffer_load_dwordx4 a[96:99], v35, s[92:95], 0 offen       // 00000000694C: E05C1000 80976023
	v_mfma_f32_16x16x32_fp8_fp8 v[136:139], a[18:19], v[170:171], v[136:139]// 000000006954: D3F30088 0E235512
	v_mfma_f32_16x16x32_fp8_fp8 v[136:139], a[20:21], v[172:173], v[136:139]// 00000000695C: D3F30088 0E235914
	buffer_load_dword v30, s[20:23], 0 offen lds               // 000000006964: E0511000 8005001E
	s_add_u32 m0, 0x500, s51                                   // 00000000696C: 807C33FF 00000500
	v_mfma_f32_16x16x32_fp8_fp8 v[136:139], a[22:23], v[174:175], v[136:139]// 000000006974: D3F30088 0E235D16
	v_mfma_f32_16x16x32_fp8_fp8 v[136:139], a[24:25], v[176:177], v[136:139]// 00000000697C: D3F30088 0E236118
	buffer_load_dwordx4 a[100:103], v35, s[92:95], 0 offen offset:1024// 000000006984: E05C1400 80976423
	v_mfma_f32_16x16x32_fp8_fp8 v[136:139], a[26:27], v[178:179], v[136:139]// 00000000698C: D3F30088 0E23651A
	v_mfma_f32_16x16x32_fp8_fp8 v[136:139], a[28:29], v[180:181], v[136:139]// 000000006994: D3F30088 0E23691C
	buffer_load_dword v31, s[20:23], 0 offen lds               // 00000000699C: E0511000 8005001F
	s_add_u32 m0, 0x600, s51                                   // 0000000069A4: 807C33FF 00000600
	v_mfma_f32_16x16x32_fp8_fp8 v[136:139], a[30:31], v[182:183], v[136:139]// 0000000069AC: D3F30088 0E236D1E
	v_mfma_f32_16x16x32_fp8_fp8 v[140:143], a[16:17], v[184:185], v[140:143]// 0000000069B4: D3F3008C 0E337110
	buffer_load_dwordx4 a[104:107], v35, s[92:95], 0 offen offset:2048// 0000000069BC: E05C1800 80976823
	v_mfma_f32_16x16x32_fp8_fp8 v[140:143], a[18:19], v[186:187], v[140:143]// 0000000069C4: D3F3008C 0E337512
	v_mfma_f32_16x16x32_fp8_fp8 v[140:143], a[20:21], v[188:189], v[140:143]// 0000000069CC: D3F3008C 0E337914
	buffer_load_dword v32, s[20:23], 0 offen lds               // 0000000069D4: E0511000 80050020
	s_add_u32 m0, 0x700, s51                                   // 0000000069DC: 807C33FF 00000700
	v_mfma_f32_16x16x32_fp8_fp8 v[140:143], a[22:23], v[190:191], v[140:143]// 0000000069E4: D3F3008C 0E337D16
	v_mfma_f32_16x16x32_fp8_fp8 v[140:143], a[24:25], v[192:193], v[140:143]// 0000000069EC: D3F3008C 0E338118
	buffer_load_dwordx4 a[108:111], v35, s[92:95], 0 offen offset:3072// 0000000069F4: E05C1C00 80976C23
	v_mfma_f32_16x16x32_fp8_fp8 v[140:143], a[26:27], v[194:195], v[140:143]// 0000000069FC: D3F3008C 0E33851A
	v_mfma_f32_16x16x32_fp8_fp8 v[140:143], a[28:29], v[196:197], v[140:143]// 000000006A04: D3F3008C 0E33891C
	buffer_load_dword v33, s[20:23], 0 offen lds               // 000000006A0C: E0511000 80050021
	s_add_u32 m0, 0, s50                                       // 000000006A14: 807C3280
	v_mfma_f32_16x16x32_fp8_fp8 v[140:143], a[30:31], v[198:199], v[140:143]// 000000006A18: D3F3008C 0E338D1E
	s_waitcnt vmcnt(24)                                        // 000000006A20: BF8C4F78
	v_mfma_f32_16x16x32_fp8_fp8 v[144:147], a[32:33], v[168:169], v[144:147]// 000000006A24: D3F30090 0E435120
	buffer_load_dwordx4 a[112:115], v36, s[92:95], 0 offen     // 000000006A2C: E05C1000 80977024
	v_mfma_f32_16x16x32_fp8_fp8 v[144:147], a[34:35], v[170:171], v[144:147]// 000000006A34: D3F30090 0E435522
	v_mfma_f32_16x16x32_fp8_fp8 v[144:147], a[36:37], v[172:173], v[144:147]// 000000006A3C: D3F30090 0E435924
	v_mfma_f32_16x16x32_fp8_fp8 v[144:147], a[38:39], v[174:175], v[144:147]// 000000006A44: D3F30090 0E435D26
	v_mfma_f32_16x16x32_fp8_fp8 v[144:147], a[40:41], v[176:177], v[144:147]// 000000006A4C: D3F30090 0E436128
	buffer_load_dwordx4 a[116:119], v36, s[92:95], 0 offen offset:1024// 000000006A54: E05C1400 80977424
	v_mfma_f32_16x16x32_fp8_fp8 v[144:147], a[42:43], v[178:179], v[144:147]// 000000006A5C: D3F30090 0E43652A
	v_mfma_f32_16x16x32_fp8_fp8 v[144:147], a[44:45], v[180:181], v[144:147]// 000000006A64: D3F30090 0E43692C
	v_mfma_f32_16x16x32_fp8_fp8 v[144:147], a[46:47], v[182:183], v[144:147]// 000000006A6C: D3F30090 0E436D2E
	v_mfma_f32_16x16x32_fp8_fp8 v[148:151], a[32:33], v[184:185], v[148:151]// 000000006A74: D3F30094 0E537120
	buffer_load_dwordx4 a[120:123], v36, s[92:95], 0 offen offset:2048// 000000006A7C: E05C1800 80977824
	v_mfma_f32_16x16x32_fp8_fp8 v[148:151], a[34:35], v[186:187], v[148:151]// 000000006A84: D3F30094 0E537522
	v_mfma_f32_16x16x32_fp8_fp8 v[148:151], a[36:37], v[188:189], v[148:151]// 000000006A8C: D3F30094 0E537924
	v_mfma_f32_16x16x32_fp8_fp8 v[148:151], a[38:39], v[190:191], v[148:151]// 000000006A94: D3F30094 0E537D26
	v_mfma_f32_16x16x32_fp8_fp8 v[148:151], a[40:41], v[192:193], v[148:151]// 000000006A9C: D3F30094 0E538128
	buffer_load_dwordx4 a[124:127], v36, s[92:95], 0 offen offset:3072// 000000006AA4: E05C1C00 80977C24
	v_mfma_f32_16x16x32_fp8_fp8 v[148:151], a[42:43], v[194:195], v[148:151]// 000000006AAC: D3F30094 0E53852A
	v_mfma_f32_16x16x32_fp8_fp8 v[148:151], a[44:45], v[196:197], v[148:151]// 000000006AB4: D3F30094 0E53892C
	v_mfma_f32_16x16x32_fp8_fp8 v[148:151], a[46:47], v[198:199], v[148:151]// 000000006ABC: D3F30094 0E538D2E
	s_waitcnt vmcnt(24)                                        // 000000006AC4: BF8C4F78
	v_mfma_f32_16x16x32_fp8_fp8 v[152:155], a[48:49], v[168:169], v[152:155]// 000000006AC8: D3F30098 0E635130
	buffer_load_dwordx4 a[128:131], v37, s[92:95], 0 offen     // 000000006AD0: E05C1000 80978025
	v_mfma_f32_16x16x32_fp8_fp8 v[152:155], a[50:51], v[170:171], v[152:155]// 000000006AD8: D3F30098 0E635532
	v_mfma_f32_16x16x32_fp8_fp8 v[152:155], a[52:53], v[172:173], v[152:155]// 000000006AE0: D3F30098 0E635934
	v_mfma_f32_16x16x32_fp8_fp8 v[152:155], a[54:55], v[174:175], v[152:155]// 000000006AE8: D3F30098 0E635D36
	v_mfma_f32_16x16x32_fp8_fp8 v[152:155], a[56:57], v[176:177], v[152:155]// 000000006AF0: D3F30098 0E636138
	buffer_load_dwordx4 a[132:135], v37, s[92:95], 0 offen offset:1024// 000000006AF8: E05C1400 80978425
	v_mfma_f32_16x16x32_fp8_fp8 v[152:155], a[58:59], v[178:179], v[152:155]// 000000006B00: D3F30098 0E63653A
	v_mfma_f32_16x16x32_fp8_fp8 v[152:155], a[60:61], v[180:181], v[152:155]// 000000006B08: D3F30098 0E63693C
	v_mfma_f32_16x16x32_fp8_fp8 v[152:155], a[62:63], v[182:183], v[152:155]// 000000006B10: D3F30098 0E636D3E
	v_mfma_f32_16x16x32_fp8_fp8 v[156:159], a[48:49], v[184:185], v[156:159]// 000000006B18: D3F3009C 0E737130
	buffer_load_dwordx4 a[136:139], v37, s[92:95], 0 offen offset:2048// 000000006B20: E05C1800 80978825
	v_mfma_f32_16x16x32_fp8_fp8 v[156:159], a[50:51], v[186:187], v[156:159]// 000000006B28: D3F3009C 0E737532
	v_mfma_f32_16x16x32_fp8_fp8 v[156:159], a[52:53], v[188:189], v[156:159]// 000000006B30: D3F3009C 0E737934
	v_mfma_f32_16x16x32_fp8_fp8 v[156:159], a[54:55], v[190:191], v[156:159]// 000000006B38: D3F3009C 0E737D36
	v_mfma_f32_16x16x32_fp8_fp8 v[156:159], a[56:57], v[192:193], v[156:159]// 000000006B40: D3F3009C 0E738138
	buffer_load_dwordx4 a[140:143], v37, s[92:95], 0 offen offset:3072// 000000006B48: E05C1C00 80978C25
	v_mfma_f32_16x16x32_fp8_fp8 v[156:159], a[58:59], v[194:195], v[156:159]// 000000006B50: D3F3009C 0E73853A
	v_mfma_f32_16x16x32_fp8_fp8 v[156:159], a[60:61], v[196:197], v[156:159]// 000000006B58: D3F3009C 0E73893C
	v_mfma_f32_16x16x32_fp8_fp8 v[156:159], a[62:63], v[198:199], v[156:159]// 000000006B60: D3F3009C 0E738D3E
	s_waitcnt vmcnt(24)                                        // 000000006B68: BF8C4F78
	v_mfma_f32_16x16x32_fp8_fp8 v[160:163], a[64:65], v[168:169], v[160:163]// 000000006B6C: D3F300A0 0E835140
	buffer_load_dwordx4 a[144:147], v38, s[92:95], 0 offen     // 000000006B74: E05C1000 80979026
	v_mfma_f32_16x16x32_fp8_fp8 v[160:163], a[66:67], v[170:171], v[160:163]// 000000006B7C: D3F300A0 0E835542
	v_mfma_f32_16x16x32_fp8_fp8 v[160:163], a[68:69], v[172:173], v[160:163]// 000000006B84: D3F300A0 0E835944
	v_mfma_f32_16x16x32_fp8_fp8 v[160:163], a[70:71], v[174:175], v[160:163]// 000000006B8C: D3F300A0 0E835D46
	v_mfma_f32_16x16x32_fp8_fp8 v[160:163], a[72:73], v[176:177], v[160:163]// 000000006B94: D3F300A0 0E836148
	buffer_load_dwordx4 a[148:151], v38, s[92:95], 0 offen offset:1024// 000000006B9C: E05C1400 80979426
	v_mfma_f32_16x16x32_fp8_fp8 v[160:163], a[74:75], v[178:179], v[160:163]// 000000006BA4: D3F300A0 0E83654A
	v_mfma_f32_16x16x32_fp8_fp8 v[160:163], a[76:77], v[180:181], v[160:163]// 000000006BAC: D3F300A0 0E83694C
	v_mfma_f32_16x16x32_fp8_fp8 v[160:163], a[78:79], v[182:183], v[160:163]// 000000006BB4: D3F300A0 0E836D4E
	v_mfma_f32_16x16x32_fp8_fp8 v[164:167], a[64:65], v[184:185], v[164:167]// 000000006BBC: D3F300A4 0E937140
	buffer_load_dwordx4 a[152:155], v38, s[92:95], 0 offen offset:2048// 000000006BC4: E05C1800 80979826
	v_mfma_f32_16x16x32_fp8_fp8 v[164:167], a[66:67], v[186:187], v[164:167]// 000000006BCC: D3F300A4 0E937542
	v_mfma_f32_16x16x32_fp8_fp8 v[164:167], a[68:69], v[188:189], v[164:167]// 000000006BD4: D3F300A4 0E937944
	v_mfma_f32_16x16x32_fp8_fp8 v[164:167], a[70:71], v[190:191], v[164:167]// 000000006BDC: D3F300A4 0E937D46
	v_mfma_f32_16x16x32_fp8_fp8 v[164:167], a[72:73], v[192:193], v[164:167]// 000000006BE4: D3F300A4 0E938148
	buffer_load_dwordx4 a[156:159], v38, s[92:95], 0 offen offset:3072// 000000006BEC: E05C1C00 80979C26
	v_mfma_f32_16x16x32_fp8_fp8 v[164:167], a[74:75], v[194:195], v[164:167]// 000000006BF4: D3F300A4 0E93854A
	v_mfma_f32_16x16x32_fp8_fp8 v[164:167], a[76:77], v[196:197], v[164:167]// 000000006BFC: D3F300A4 0E93894C
	v_mfma_f32_16x16x32_fp8_fp8 v[164:167], a[78:79], v[198:199], v[164:167]// 000000006C04: D3F300A4 0E938D4E
	s_waitcnt vmcnt(12)                                        // 000000006C0C: BF8C0F7C
	s_barrier                                                  // 000000006C10: BF8A0000
	v_mfma_f32_16x16x32_fp8_fp8 v[64:67], a[80:81], v[168:169], v[64:67]// 000000006C14: D3F30040 0D035150
	buffer_load_dwordx4 a[0:3], v34, s[24:27], 0 offen         // 000000006C1C: E05C1000 80860022
	v_mfma_f32_16x16x32_fp8_fp8 v[64:67], a[82:83], v[170:171], v[64:67]// 000000006C24: D3F30040 0D035552
	v_mfma_f32_16x16x32_fp8_fp8 v[64:67], a[84:85], v[172:173], v[64:67]// 000000006C2C: D3F30040 0D035954
	v_mfma_f32_16x16x32_fp8_fp8 v[64:67], a[86:87], v[174:175], v[64:67]// 000000006C34: D3F30040 0D035D56
	v_mfma_f32_16x16x32_fp8_fp8 v[64:67], a[88:89], v[176:177], v[64:67]// 000000006C3C: D3F30040 0D036158
	buffer_load_dwordx4 a[4:7], v34, s[24:27], 0 offen offset:1024// 000000006C44: E05C1400 80860422
	v_mfma_f32_16x16x32_fp8_fp8 v[64:67], a[90:91], v[178:179], v[64:67]// 000000006C4C: D3F30040 0D03655A
	v_mfma_f32_16x16x32_fp8_fp8 v[64:67], a[92:93], v[180:181], v[64:67]// 000000006C54: D3F30040 0D03695C
	v_mfma_f32_16x16x32_fp8_fp8 v[64:67], a[94:95], v[182:183], v[64:67]// 000000006C5C: D3F30040 0D036D5E
	v_mfma_f32_16x16x32_fp8_fp8 v[68:71], a[80:81], v[184:185], v[68:71]// 000000006C64: D3F30044 0D137150
	buffer_load_dwordx4 a[8:11], v34, s[24:27], 0 offen offset:2048// 000000006C6C: E05C1800 80860822
	v_mfma_f32_16x16x32_fp8_fp8 v[68:71], a[82:83], v[186:187], v[68:71]// 000000006C74: D3F30044 0D137552
	v_mfma_f32_16x16x32_fp8_fp8 v[68:71], a[84:85], v[188:189], v[68:71]// 000000006C7C: D3F30044 0D137954
	v_mfma_f32_16x16x32_fp8_fp8 v[68:71], a[86:87], v[190:191], v[68:71]// 000000006C84: D3F30044 0D137D56
	v_mfma_f32_16x16x32_fp8_fp8 v[68:71], a[88:89], v[192:193], v[68:71]// 000000006C8C: D3F30044 0D138158
	buffer_load_dwordx4 a[12:15], v34, s[24:27], 0 offen offset:3072// 000000006C94: E05C1C00 80860C22
	v_mfma_f32_16x16x32_fp8_fp8 v[68:71], a[90:91], v[194:195], v[68:71]// 000000006C9C: D3F30044 0D13855A
	v_mfma_f32_16x16x32_fp8_fp8 v[68:71], a[92:93], v[196:197], v[68:71]// 000000006CA4: D3F30044 0D13895C
	v_mfma_f32_16x16x32_fp8_fp8 v[68:71], a[94:95], v[198:199], v[68:71]// 000000006CAC: D3F30044 0D138D5E
	v_mfma_f32_16x16x32_fp8_fp8 v[72:75], a[96:97], v[168:169], v[72:75]// 000000006CB4: D3F30048 0D235160
	buffer_load_dwordx4 a[16:19], v35, s[24:27], 0 offen       // 000000006CBC: E05C1000 80861023
	v_mfma_f32_16x16x32_fp8_fp8 v[72:75], a[98:99], v[170:171], v[72:75]// 000000006CC4: D3F30048 0D235562
	v_mfma_f32_16x16x32_fp8_fp8 v[72:75], a[100:101], v[172:173], v[72:75]// 000000006CCC: D3F30048 0D235964
	v_mfma_f32_16x16x32_fp8_fp8 v[72:75], a[102:103], v[174:175], v[72:75]// 000000006CD4: D3F30048 0D235D66
	v_mfma_f32_16x16x32_fp8_fp8 v[72:75], a[104:105], v[176:177], v[72:75]// 000000006CDC: D3F30048 0D236168
	buffer_load_dwordx4 a[20:23], v35, s[24:27], 0 offen offset:1024// 000000006CE4: E05C1400 80861423
	v_mfma_f32_16x16x32_fp8_fp8 v[72:75], a[106:107], v[178:179], v[72:75]// 000000006CEC: D3F30048 0D23656A
	v_mfma_f32_16x16x32_fp8_fp8 v[72:75], a[108:109], v[180:181], v[72:75]// 000000006CF4: D3F30048 0D23696C
	v_mfma_f32_16x16x32_fp8_fp8 v[72:75], a[110:111], v[182:183], v[72:75]// 000000006CFC: D3F30048 0D236D6E
	v_mfma_f32_16x16x32_fp8_fp8 v[76:79], a[96:97], v[184:185], v[76:79]// 000000006D04: D3F3004C 0D337160
	buffer_load_dwordx4 a[24:27], v35, s[24:27], 0 offen offset:2048// 000000006D0C: E05C1800 80861823
	v_mfma_f32_16x16x32_fp8_fp8 v[76:79], a[98:99], v[186:187], v[76:79]// 000000006D14: D3F3004C 0D337562
	v_mfma_f32_16x16x32_fp8_fp8 v[76:79], a[100:101], v[188:189], v[76:79]// 000000006D1C: D3F3004C 0D337964
	v_mfma_f32_16x16x32_fp8_fp8 v[76:79], a[102:103], v[190:191], v[76:79]// 000000006D24: D3F3004C 0D337D66
	v_mfma_f32_16x16x32_fp8_fp8 v[76:79], a[104:105], v[192:193], v[76:79]// 000000006D2C: D3F3004C 0D338168
	buffer_load_dwordx4 a[28:31], v35, s[24:27], 0 offen offset:3072// 000000006D34: E05C1C00 80861C23
	v_mfma_f32_16x16x32_fp8_fp8 v[76:79], a[106:107], v[194:195], v[76:79]// 000000006D3C: D3F3004C 0D33856A
	v_mfma_f32_16x16x32_fp8_fp8 v[76:79], a[108:109], v[196:197], v[76:79]// 000000006D44: D3F3004C 0D33896C
	v_mfma_f32_16x16x32_fp8_fp8 v[76:79], a[110:111], v[198:199], v[76:79]// 000000006D4C: D3F3004C 0D338D6E
	s_waitcnt vmcnt(16)                                        // 000000006D54: BF8C4F70
	v_mfma_f32_16x16x32_fp8_fp8 v[80:83], a[112:113], v[168:169], v[80:83]// 000000006D58: D3F30050 0D435170
	buffer_load_dwordx4 a[32:35], v36, s[24:27], 0 offen       // 000000006D60: E05C1000 80862024
	v_mfma_f32_16x16x32_fp8_fp8 v[80:83], a[114:115], v[170:171], v[80:83]// 000000006D68: D3F30050 0D435572
	v_mfma_f32_16x16x32_fp8_fp8 v[80:83], a[116:117], v[172:173], v[80:83]// 000000006D70: D3F30050 0D435974
	ds_read_b128 v[200:203], v2 offset:8320                    // 000000006D78: D9FE2080 C8000002
	v_mfma_f32_16x16x32_fp8_fp8 v[80:83], a[118:119], v[174:175], v[80:83]// 000000006D80: D3F30050 0D435D76
	v_mfma_f32_16x16x32_fp8_fp8 v[80:83], a[120:121], v[176:177], v[80:83]// 000000006D88: D3F30050 0D436178
	buffer_load_dwordx4 a[36:39], v36, s[24:27], 0 offen offset:1024// 000000006D90: E05C1400 80862424
	v_mfma_f32_16x16x32_fp8_fp8 v[80:83], a[122:123], v[178:179], v[80:83]// 000000006D98: D3F30050 0D43657A
	v_mfma_f32_16x16x32_fp8_fp8 v[80:83], a[124:125], v[180:181], v[80:83]// 000000006DA0: D3F30050 0D43697C
	ds_read_b128 v[204:207], v2 offset:8384                    // 000000006DA8: D9FE20C0 CC000002
	v_mfma_f32_16x16x32_fp8_fp8 v[80:83], a[126:127], v[182:183], v[80:83]// 000000006DB0: D3F30050 0D436D7E
	v_mfma_f32_16x16x32_fp8_fp8 v[84:87], a[112:113], v[184:185], v[84:87]// 000000006DB8: D3F30054 0D537170
	buffer_load_dwordx4 a[40:43], v36, s[24:27], 0 offen offset:2048// 000000006DC0: E05C1800 80862824
	v_mfma_f32_16x16x32_fp8_fp8 v[84:87], a[114:115], v[186:187], v[84:87]// 000000006DC8: D3F30054 0D537572
	v_mfma_f32_16x16x32_fp8_fp8 v[84:87], a[116:117], v[188:189], v[84:87]// 000000006DD0: D3F30054 0D537974
	ds_read_b128 v[208:211], v2 offset:8448                    // 000000006DD8: D9FE2100 D0000002
	v_mfma_f32_16x16x32_fp8_fp8 v[84:87], a[118:119], v[190:191], v[84:87]// 000000006DE0: D3F30054 0D537D76
	v_mfma_f32_16x16x32_fp8_fp8 v[84:87], a[120:121], v[192:193], v[84:87]// 000000006DE8: D3F30054 0D538178
	buffer_load_dwordx4 a[44:47], v36, s[24:27], 0 offen offset:3072// 000000006DF0: E05C1C00 80862C24
	v_mfma_f32_16x16x32_fp8_fp8 v[84:87], a[122:123], v[194:195], v[84:87]// 000000006DF8: D3F30054 0D53857A
	v_mfma_f32_16x16x32_fp8_fp8 v[84:87], a[124:125], v[196:197], v[84:87]// 000000006E00: D3F30054 0D53897C
	ds_read_b128 v[212:215], v2 offset:8512                    // 000000006E08: D9FE2140 D4000002
	v_mfma_f32_16x16x32_fp8_fp8 v[84:87], a[126:127], v[198:199], v[84:87]// 000000006E10: D3F30054 0D538D7E
	s_waitcnt vmcnt(16)                                        // 000000006E18: BF8C4F70
	v_mfma_f32_16x16x32_fp8_fp8 v[88:91], a[128:129], v[168:169], v[88:91]// 000000006E1C: D3F30058 0D635180
	buffer_load_dwordx4 a[48:51], v37, s[24:27], 0 offen       // 000000006E24: E05C1000 80863025
	v_mfma_f32_16x16x32_fp8_fp8 v[88:91], a[130:131], v[170:171], v[88:91]// 000000006E2C: D3F30058 0D635582
	v_mfma_f32_16x16x32_fp8_fp8 v[88:91], a[132:133], v[172:173], v[88:91]// 000000006E34: D3F30058 0D635984
	ds_read_b128 v[216:219], v2 offset:9344                    // 000000006E3C: D9FE2480 D8000002
	v_mfma_f32_16x16x32_fp8_fp8 v[88:91], a[134:135], v[174:175], v[88:91]// 000000006E44: D3F30058 0D635D86
	v_mfma_f32_16x16x32_fp8_fp8 v[88:91], a[136:137], v[176:177], v[88:91]// 000000006E4C: D3F30058 0D636188
	buffer_load_dwordx4 a[52:55], v37, s[24:27], 0 offen offset:1024// 000000006E54: E05C1400 80863425
	v_mfma_f32_16x16x32_fp8_fp8 v[88:91], a[138:139], v[178:179], v[88:91]// 000000006E5C: D3F30058 0D63658A
	v_mfma_f32_16x16x32_fp8_fp8 v[88:91], a[140:141], v[180:181], v[88:91]// 000000006E64: D3F30058 0D63698C
	ds_read_b128 v[220:223], v2 offset:9408                    // 000000006E6C: D9FE24C0 DC000002
	v_mfma_f32_16x16x32_fp8_fp8 v[88:91], a[142:143], v[182:183], v[88:91]// 000000006E74: D3F30058 0D636D8E
	v_mfma_f32_16x16x32_fp8_fp8 v[92:95], a[128:129], v[184:185], v[92:95]// 000000006E7C: D3F3005C 0D737180
	buffer_load_dwordx4 a[56:59], v37, s[24:27], 0 offen offset:2048// 000000006E84: E05C1800 80863825
	v_mfma_f32_16x16x32_fp8_fp8 v[92:95], a[130:131], v[186:187], v[92:95]// 000000006E8C: D3F3005C 0D737582
	v_mfma_f32_16x16x32_fp8_fp8 v[92:95], a[132:133], v[188:189], v[92:95]// 000000006E94: D3F3005C 0D737984
	ds_read_b128 v[224:227], v2 offset:9472                    // 000000006E9C: D9FE2500 E0000002
	v_mfma_f32_16x16x32_fp8_fp8 v[92:95], a[134:135], v[190:191], v[92:95]// 000000006EA4: D3F3005C 0D737D86
	v_mfma_f32_16x16x32_fp8_fp8 v[92:95], a[136:137], v[192:193], v[92:95]// 000000006EAC: D3F3005C 0D738188
	buffer_load_dwordx4 a[60:63], v37, s[24:27], 0 offen offset:3072// 000000006EB4: E05C1C00 80863C25
	v_mfma_f32_16x16x32_fp8_fp8 v[92:95], a[138:139], v[194:195], v[92:95]// 000000006EBC: D3F3005C 0D73858A
	v_mfma_f32_16x16x32_fp8_fp8 v[92:95], a[140:141], v[196:197], v[92:95]// 000000006EC4: D3F3005C 0D73898C
	ds_read_b128 v[228:231], v2 offset:9536                    // 000000006ECC: D9FE2540 E4000002
	v_mfma_f32_16x16x32_fp8_fp8 v[92:95], a[142:143], v[198:199], v[92:95]// 000000006ED4: D3F3005C 0D738D8E
	s_waitcnt vmcnt(16)                                        // 000000006EDC: BF8C4F70
	v_mfma_f32_16x16x32_fp8_fp8 v[96:99], a[144:145], v[168:169], v[96:99]// 000000006EE0: D3F30060 0D835190
	buffer_load_dwordx4 a[64:67], v38, s[24:27], 0 offen       // 000000006EE8: E05C1000 80864026
	v_mfma_f32_16x16x32_fp8_fp8 v[96:99], a[146:147], v[170:171], v[96:99]// 000000006EF0: D3F30060 0D835592
	v_mfma_f32_16x16x32_fp8_fp8 v[96:99], a[148:149], v[172:173], v[96:99]// 000000006EF8: D3F30060 0D835994
	v_mfma_f32_16x16x32_fp8_fp8 v[96:99], a[150:151], v[174:175], v[96:99]// 000000006F00: D3F30060 0D835D96
	v_mfma_f32_16x16x32_fp8_fp8 v[96:99], a[152:153], v[176:177], v[96:99]// 000000006F08: D3F30060 0D836198
	buffer_load_dwordx4 a[68:71], v38, s[24:27], 0 offen offset:1024// 000000006F10: E05C1400 80864426
	v_mfma_f32_16x16x32_fp8_fp8 v[96:99], a[154:155], v[178:179], v[96:99]// 000000006F18: D3F30060 0D83659A
	v_mfma_f32_16x16x32_fp8_fp8 v[96:99], a[156:157], v[180:181], v[96:99]// 000000006F20: D3F30060 0D83699C
	v_mfma_f32_16x16x32_fp8_fp8 v[96:99], a[158:159], v[182:183], v[96:99]// 000000006F28: D3F30060 0D836D9E
	v_mfma_f32_16x16x32_fp8_fp8 v[100:103], a[144:145], v[184:185], v[100:103]// 000000006F30: D3F30064 0D937190
	buffer_load_dwordx4 a[72:75], v38, s[24:27], 0 offen offset:2048// 000000006F38: E05C1800 80864826
	v_mfma_f32_16x16x32_fp8_fp8 v[100:103], a[146:147], v[186:187], v[100:103]// 000000006F40: D3F30064 0D937592
	v_mfma_f32_16x16x32_fp8_fp8 v[100:103], a[148:149], v[188:189], v[100:103]// 000000006F48: D3F30064 0D937994
	v_mfma_f32_16x16x32_fp8_fp8 v[100:103], a[150:151], v[190:191], v[100:103]// 000000006F50: D3F30064 0D937D96
	v_mfma_f32_16x16x32_fp8_fp8 v[100:103], a[152:153], v[192:193], v[100:103]// 000000006F58: D3F30064 0D938198
	buffer_load_dwordx4 a[76:79], v38, s[24:27], 0 offen offset:3072// 000000006F60: E05C1C00 80864C26
	v_mfma_f32_16x16x32_fp8_fp8 v[100:103], a[154:155], v[194:195], v[100:103]// 000000006F68: D3F30064 0D93859A
	v_mfma_f32_16x16x32_fp8_fp8 v[100:103], a[156:157], v[196:197], v[100:103]// 000000006F70: D3F30064 0D93899C
	v_mfma_f32_16x16x32_fp8_fp8 v[100:103], a[158:159], v[198:199], v[100:103]// 000000006F78: D3F30064 0D938D9E
	s_add_u32 s60, 0x200, s80                                  // 000000006F80: 803C50FF 00000200
	s_cmp_lt_u32 s60, s81                                      // 000000006F88: BF0A513C
	s_cselect_b32 s57, s57, 0                                  // 000000006F8C: 85398039
	s_add_u32 s60, 0x200, s80                                  // 000000006F90: 803C50FF 00000200
	s_cmp_lt_u32 s60, s81                                      // 000000006F98: BF0A513C
	s_cselect_b32 s58, s58, 0                                  // 000000006F9C: 853A803A
	s_add_u32 s20, s57, s20                                    // 000000006FA0: 80141439
	s_addc_u32 s21, 0, s21                                     // 000000006FA4: 82151580
	s_add_u32 s24, s58, s24                                    // 000000006FA8: 8018183A
	s_addc_u32 s25, 0, s25                                     // 000000006FAC: 82191980
	s_add_u32 s92, s90, s92                                    // 000000006FB0: 805C5C5A
	s_addc_u32 s93, 0, s93                                     // 000000006FB4: 825D5D80
	s_addk_i32 s80, 0x100                                      // 000000006FB8: B7500100
	s_cmp_lt_i32 s80, s81                                      // 000000006FBC: BF045150
	s_cbranch_scc0 label_124C                                  // 000000006FC0: BF8401DB
	s_waitcnt vmcnt(12) lgkmcnt(0)                             // 000000006FC4: BF8C007C
	s_barrier                                                  // 000000006FC8: BF8A0000
	v_mfma_f32_16x16x32_fp8_fp8 v[128:131], a[0:1], v[200:201], v[128:131]// 000000006FCC: D3F30080 0E039100
	buffer_load_dwordx4 a[80:83], v34, s[92:95], 0 offen       // 000000006FD4: E05C1000 80975022
	v_mfma_f32_16x16x32_fp8_fp8 v[128:131], a[2:3], v[202:203], v[128:131]// 000000006FDC: D3F30080 0E039502
	v_mfma_f32_16x16x32_fp8_fp8 v[128:131], a[4:5], v[204:205], v[128:131]// 000000006FE4: D3F30080 0E039904
	buffer_load_dword v26, s[20:23], 0 offen lds               // 000000006FEC: E0511000 8005001A
	s_add_u32 m0, 0x100, s50                                   // 000000006FF4: 807C32FF 00000100
	v_mfma_f32_16x16x32_fp8_fp8 v[128:131], a[6:7], v[206:207], v[128:131]// 000000006FFC: D3F30080 0E039D06
	v_mfma_f32_16x16x32_fp8_fp8 v[128:131], a[8:9], v[208:209], v[128:131]// 000000007004: D3F30080 0E03A108
	buffer_load_dwordx4 a[84:87], v34, s[92:95], 0 offen offset:1024// 00000000700C: E05C1400 80975422
	v_mfma_f32_16x16x32_fp8_fp8 v[128:131], a[10:11], v[210:211], v[128:131]// 000000007014: D3F30080 0E03A50A
	v_mfma_f32_16x16x32_fp8_fp8 v[128:131], a[12:13], v[212:213], v[128:131]// 00000000701C: D3F30080 0E03A90C
	buffer_load_dword v27, s[20:23], 0 offen lds               // 000000007024: E0511000 8005001B
	s_add_u32 m0, 0x200, s50                                   // 00000000702C: 807C32FF 00000200
	v_mfma_f32_16x16x32_fp8_fp8 v[128:131], a[14:15], v[214:215], v[128:131]// 000000007034: D3F30080 0E03AD0E
	v_mfma_f32_16x16x32_fp8_fp8 v[132:135], a[0:1], v[216:217], v[132:135]// 00000000703C: D3F30084 0E13B100
	buffer_load_dwordx4 a[88:91], v34, s[92:95], 0 offen offset:2048// 000000007044: E05C1800 80975822
	v_mfma_f32_16x16x32_fp8_fp8 v[132:135], a[2:3], v[218:219], v[132:135]// 00000000704C: D3F30084 0E13B502
	v_mfma_f32_16x16x32_fp8_fp8 v[132:135], a[4:5], v[220:221], v[132:135]// 000000007054: D3F30084 0E13B904
	buffer_load_dword v28, s[20:23], 0 offen lds               // 00000000705C: E0511000 8005001C
	s_add_u32 m0, 0x300, s50                                   // 000000007064: 807C32FF 00000300
	v_mfma_f32_16x16x32_fp8_fp8 v[132:135], a[6:7], v[222:223], v[132:135]// 00000000706C: D3F30084 0E13BD06
	v_mfma_f32_16x16x32_fp8_fp8 v[132:135], a[8:9], v[224:225], v[132:135]// 000000007074: D3F30084 0E13C108
	buffer_load_dwordx4 a[92:95], v34, s[92:95], 0 offen offset:3072// 00000000707C: E05C1C00 80975C22
	v_mfma_f32_16x16x32_fp8_fp8 v[132:135], a[10:11], v[226:227], v[132:135]// 000000007084: D3F30084 0E13C50A
	v_mfma_f32_16x16x32_fp8_fp8 v[132:135], a[12:13], v[228:229], v[132:135]// 00000000708C: D3F30084 0E13C90C
	buffer_load_dword v29, s[20:23], 0 offen lds               // 000000007094: E0511000 8005001D
	s_add_u32 m0, 0x400, s50                                   // 00000000709C: 807C32FF 00000400
	v_mfma_f32_16x16x32_fp8_fp8 v[132:135], a[14:15], v[230:231], v[132:135]// 0000000070A4: D3F30084 0E13CD0E
	v_mfma_f32_16x16x32_fp8_fp8 v[136:139], a[16:17], v[200:201], v[136:139]// 0000000070AC: D3F30088 0E239110
	buffer_load_dwordx4 a[96:99], v35, s[92:95], 0 offen       // 0000000070B4: E05C1000 80976023
	v_mfma_f32_16x16x32_fp8_fp8 v[136:139], a[18:19], v[202:203], v[136:139]// 0000000070BC: D3F30088 0E239512
	v_mfma_f32_16x16x32_fp8_fp8 v[136:139], a[20:21], v[204:205], v[136:139]// 0000000070C4: D3F30088 0E239914
	buffer_load_dword v30, s[20:23], 0 offen lds               // 0000000070CC: E0511000 8005001E
	s_add_u32 m0, 0x500, s50                                   // 0000000070D4: 807C32FF 00000500
	v_mfma_f32_16x16x32_fp8_fp8 v[136:139], a[22:23], v[206:207], v[136:139]// 0000000070DC: D3F30088 0E239D16
	v_mfma_f32_16x16x32_fp8_fp8 v[136:139], a[24:25], v[208:209], v[136:139]// 0000000070E4: D3F30088 0E23A118
	buffer_load_dwordx4 a[100:103], v35, s[92:95], 0 offen offset:1024// 0000000070EC: E05C1400 80976423
	v_mfma_f32_16x16x32_fp8_fp8 v[136:139], a[26:27], v[210:211], v[136:139]// 0000000070F4: D3F30088 0E23A51A
	v_mfma_f32_16x16x32_fp8_fp8 v[136:139], a[28:29], v[212:213], v[136:139]// 0000000070FC: D3F30088 0E23A91C
	buffer_load_dword v31, s[20:23], 0 offen lds               // 000000007104: E0511000 8005001F
	s_add_u32 m0, 0x600, s50                                   // 00000000710C: 807C32FF 00000600
	v_mfma_f32_16x16x32_fp8_fp8 v[136:139], a[30:31], v[214:215], v[136:139]// 000000007114: D3F30088 0E23AD1E
	v_mfma_f32_16x16x32_fp8_fp8 v[140:143], a[16:17], v[216:217], v[140:143]// 00000000711C: D3F3008C 0E33B110
	buffer_load_dwordx4 a[104:107], v35, s[92:95], 0 offen offset:2048// 000000007124: E05C1800 80976823
	v_mfma_f32_16x16x32_fp8_fp8 v[140:143], a[18:19], v[218:219], v[140:143]// 00000000712C: D3F3008C 0E33B512
	v_mfma_f32_16x16x32_fp8_fp8 v[140:143], a[20:21], v[220:221], v[140:143]// 000000007134: D3F3008C 0E33B914
	buffer_load_dword v32, s[20:23], 0 offen lds               // 00000000713C: E0511000 80050020
	s_add_u32 m0, 0x700, s50                                   // 000000007144: 807C32FF 00000700
	v_mfma_f32_16x16x32_fp8_fp8 v[140:143], a[22:23], v[222:223], v[140:143]// 00000000714C: D3F3008C 0E33BD16
	v_mfma_f32_16x16x32_fp8_fp8 v[140:143], a[24:25], v[224:225], v[140:143]// 000000007154: D3F3008C 0E33C118
	buffer_load_dwordx4 a[108:111], v35, s[92:95], 0 offen offset:3072// 00000000715C: E05C1C00 80976C23
	v_mfma_f32_16x16x32_fp8_fp8 v[140:143], a[26:27], v[226:227], v[140:143]// 000000007164: D3F3008C 0E33C51A
	v_mfma_f32_16x16x32_fp8_fp8 v[140:143], a[28:29], v[228:229], v[140:143]// 00000000716C: D3F3008C 0E33C91C
	buffer_load_dword v33, s[20:23], 0 offen lds               // 000000007174: E0511000 80050021
	s_add_u32 m0, 0, s51                                       // 00000000717C: 807C3380
	v_mfma_f32_16x16x32_fp8_fp8 v[140:143], a[30:31], v[230:231], v[140:143]// 000000007180: D3F3008C 0E33CD1E
	s_waitcnt vmcnt(24)                                        // 000000007188: BF8C4F78
	v_mfma_f32_16x16x32_fp8_fp8 v[144:147], a[32:33], v[200:201], v[144:147]// 00000000718C: D3F30090 0E439120
	buffer_load_dwordx4 a[112:115], v36, s[92:95], 0 offen     // 000000007194: E05C1000 80977024
	v_mfma_f32_16x16x32_fp8_fp8 v[144:147], a[34:35], v[202:203], v[144:147]// 00000000719C: D3F30090 0E439522
	v_mfma_f32_16x16x32_fp8_fp8 v[144:147], a[36:37], v[204:205], v[144:147]// 0000000071A4: D3F30090 0E439924
	v_mfma_f32_16x16x32_fp8_fp8 v[144:147], a[38:39], v[206:207], v[144:147]// 0000000071AC: D3F30090 0E439D26
	v_mfma_f32_16x16x32_fp8_fp8 v[144:147], a[40:41], v[208:209], v[144:147]// 0000000071B4: D3F30090 0E43A128
	buffer_load_dwordx4 a[116:119], v36, s[92:95], 0 offen offset:1024// 0000000071BC: E05C1400 80977424
	v_mfma_f32_16x16x32_fp8_fp8 v[144:147], a[42:43], v[210:211], v[144:147]// 0000000071C4: D3F30090 0E43A52A
	v_mfma_f32_16x16x32_fp8_fp8 v[144:147], a[44:45], v[212:213], v[144:147]// 0000000071CC: D3F30090 0E43A92C
	v_mfma_f32_16x16x32_fp8_fp8 v[144:147], a[46:47], v[214:215], v[144:147]// 0000000071D4: D3F30090 0E43AD2E
	v_mfma_f32_16x16x32_fp8_fp8 v[148:151], a[32:33], v[216:217], v[148:151]// 0000000071DC: D3F30094 0E53B120
	buffer_load_dwordx4 a[120:123], v36, s[92:95], 0 offen offset:2048// 0000000071E4: E05C1800 80977824
	v_mfma_f32_16x16x32_fp8_fp8 v[148:151], a[34:35], v[218:219], v[148:151]// 0000000071EC: D3F30094 0E53B522
	v_mfma_f32_16x16x32_fp8_fp8 v[148:151], a[36:37], v[220:221], v[148:151]// 0000000071F4: D3F30094 0E53B924
	v_mfma_f32_16x16x32_fp8_fp8 v[148:151], a[38:39], v[222:223], v[148:151]// 0000000071FC: D3F30094 0E53BD26
	v_mfma_f32_16x16x32_fp8_fp8 v[148:151], a[40:41], v[224:225], v[148:151]// 000000007204: D3F30094 0E53C128
	buffer_load_dwordx4 a[124:127], v36, s[92:95], 0 offen offset:3072// 00000000720C: E05C1C00 80977C24
	v_mfma_f32_16x16x32_fp8_fp8 v[148:151], a[42:43], v[226:227], v[148:151]// 000000007214: D3F30094 0E53C52A
	v_mfma_f32_16x16x32_fp8_fp8 v[148:151], a[44:45], v[228:229], v[148:151]// 00000000721C: D3F30094 0E53C92C
	v_mfma_f32_16x16x32_fp8_fp8 v[148:151], a[46:47], v[230:231], v[148:151]// 000000007224: D3F30094 0E53CD2E
	s_waitcnt vmcnt(24)                                        // 00000000722C: BF8C4F78
	v_mfma_f32_16x16x32_fp8_fp8 v[152:155], a[48:49], v[200:201], v[152:155]// 000000007230: D3F30098 0E639130
	buffer_load_dwordx4 a[128:131], v37, s[92:95], 0 offen     // 000000007238: E05C1000 80978025
	v_mfma_f32_16x16x32_fp8_fp8 v[152:155], a[50:51], v[202:203], v[152:155]// 000000007240: D3F30098 0E639532
	v_mfma_f32_16x16x32_fp8_fp8 v[152:155], a[52:53], v[204:205], v[152:155]// 000000007248: D3F30098 0E639934
	v_mfma_f32_16x16x32_fp8_fp8 v[152:155], a[54:55], v[206:207], v[152:155]// 000000007250: D3F30098 0E639D36
	v_mfma_f32_16x16x32_fp8_fp8 v[152:155], a[56:57], v[208:209], v[152:155]// 000000007258: D3F30098 0E63A138
	buffer_load_dwordx4 a[132:135], v37, s[92:95], 0 offen offset:1024// 000000007260: E05C1400 80978425
	v_mfma_f32_16x16x32_fp8_fp8 v[152:155], a[58:59], v[210:211], v[152:155]// 000000007268: D3F30098 0E63A53A
	v_mfma_f32_16x16x32_fp8_fp8 v[152:155], a[60:61], v[212:213], v[152:155]// 000000007270: D3F30098 0E63A93C
	v_mfma_f32_16x16x32_fp8_fp8 v[152:155], a[62:63], v[214:215], v[152:155]// 000000007278: D3F30098 0E63AD3E
	v_mfma_f32_16x16x32_fp8_fp8 v[156:159], a[48:49], v[216:217], v[156:159]// 000000007280: D3F3009C 0E73B130
	buffer_load_dwordx4 a[136:139], v37, s[92:95], 0 offen offset:2048// 000000007288: E05C1800 80978825
	v_mfma_f32_16x16x32_fp8_fp8 v[156:159], a[50:51], v[218:219], v[156:159]// 000000007290: D3F3009C 0E73B532
	v_mfma_f32_16x16x32_fp8_fp8 v[156:159], a[52:53], v[220:221], v[156:159]// 000000007298: D3F3009C 0E73B934
	v_mfma_f32_16x16x32_fp8_fp8 v[156:159], a[54:55], v[222:223], v[156:159]// 0000000072A0: D3F3009C 0E73BD36
	v_mfma_f32_16x16x32_fp8_fp8 v[156:159], a[56:57], v[224:225], v[156:159]// 0000000072A8: D3F3009C 0E73C138
	buffer_load_dwordx4 a[140:143], v37, s[92:95], 0 offen offset:3072// 0000000072B0: E05C1C00 80978C25
	v_mfma_f32_16x16x32_fp8_fp8 v[156:159], a[58:59], v[226:227], v[156:159]// 0000000072B8: D3F3009C 0E73C53A
	v_mfma_f32_16x16x32_fp8_fp8 v[156:159], a[60:61], v[228:229], v[156:159]// 0000000072C0: D3F3009C 0E73C93C
	v_mfma_f32_16x16x32_fp8_fp8 v[156:159], a[62:63], v[230:231], v[156:159]// 0000000072C8: D3F3009C 0E73CD3E
	s_waitcnt vmcnt(24)                                        // 0000000072D0: BF8C4F78
	v_mfma_f32_16x16x32_fp8_fp8 v[160:163], a[64:65], v[200:201], v[160:163]// 0000000072D4: D3F300A0 0E839140
	buffer_load_dwordx4 a[144:147], v38, s[92:95], 0 offen     // 0000000072DC: E05C1000 80979026
	v_mfma_f32_16x16x32_fp8_fp8 v[160:163], a[66:67], v[202:203], v[160:163]// 0000000072E4: D3F300A0 0E839542
	v_mfma_f32_16x16x32_fp8_fp8 v[160:163], a[68:69], v[204:205], v[160:163]// 0000000072EC: D3F300A0 0E839944
	v_mfma_f32_16x16x32_fp8_fp8 v[160:163], a[70:71], v[206:207], v[160:163]// 0000000072F4: D3F300A0 0E839D46
	v_mfma_f32_16x16x32_fp8_fp8 v[160:163], a[72:73], v[208:209], v[160:163]// 0000000072FC: D3F300A0 0E83A148
	buffer_load_dwordx4 a[148:151], v38, s[92:95], 0 offen offset:1024// 000000007304: E05C1400 80979426
	v_mfma_f32_16x16x32_fp8_fp8 v[160:163], a[74:75], v[210:211], v[160:163]// 00000000730C: D3F300A0 0E83A54A
	v_mfma_f32_16x16x32_fp8_fp8 v[160:163], a[76:77], v[212:213], v[160:163]// 000000007314: D3F300A0 0E83A94C
	v_mfma_f32_16x16x32_fp8_fp8 v[160:163], a[78:79], v[214:215], v[160:163]// 00000000731C: D3F300A0 0E83AD4E
	v_mfma_f32_16x16x32_fp8_fp8 v[164:167], a[64:65], v[216:217], v[164:167]// 000000007324: D3F300A4 0E93B140
	buffer_load_dwordx4 a[152:155], v38, s[92:95], 0 offen offset:2048// 00000000732C: E05C1800 80979826
	v_mfma_f32_16x16x32_fp8_fp8 v[164:167], a[66:67], v[218:219], v[164:167]// 000000007334: D3F300A4 0E93B542
	v_mfma_f32_16x16x32_fp8_fp8 v[164:167], a[68:69], v[220:221], v[164:167]// 00000000733C: D3F300A4 0E93B944
	v_mfma_f32_16x16x32_fp8_fp8 v[164:167], a[70:71], v[222:223], v[164:167]// 000000007344: D3F300A4 0E93BD46
	v_mfma_f32_16x16x32_fp8_fp8 v[164:167], a[72:73], v[224:225], v[164:167]// 00000000734C: D3F300A4 0E93C148
	buffer_load_dwordx4 a[156:159], v38, s[92:95], 0 offen offset:3072// 000000007354: E05C1C00 80979C26
	v_mfma_f32_16x16x32_fp8_fp8 v[164:167], a[74:75], v[226:227], v[164:167]// 00000000735C: D3F300A4 0E93C54A
	v_mfma_f32_16x16x32_fp8_fp8 v[164:167], a[76:77], v[228:229], v[164:167]// 000000007364: D3F300A4 0E93C94C
	v_mfma_f32_16x16x32_fp8_fp8 v[164:167], a[78:79], v[230:231], v[164:167]// 00000000736C: D3F300A4 0E93CD4E
	s_waitcnt vmcnt(12)                                        // 000000007374: BF8C0F7C
	s_barrier                                                  // 000000007378: BF8A0000
	v_mfma_f32_16x16x32_fp8_fp8 v[64:67], a[80:81], v[200:201], v[64:67]// 00000000737C: D3F30040 0D039150
	buffer_load_dwordx4 a[0:3], v34, s[24:27], 0 offen         // 000000007384: E05C1000 80860022
	v_mfma_f32_16x16x32_fp8_fp8 v[64:67], a[82:83], v[202:203], v[64:67]// 00000000738C: D3F30040 0D039552
	v_mfma_f32_16x16x32_fp8_fp8 v[64:67], a[84:85], v[204:205], v[64:67]// 000000007394: D3F30040 0D039954
	v_mfma_f32_16x16x32_fp8_fp8 v[64:67], a[86:87], v[206:207], v[64:67]// 00000000739C: D3F30040 0D039D56
	v_mfma_f32_16x16x32_fp8_fp8 v[64:67], a[88:89], v[208:209], v[64:67]// 0000000073A4: D3F30040 0D03A158
	buffer_load_dwordx4 a[4:7], v34, s[24:27], 0 offen offset:1024// 0000000073AC: E05C1400 80860422
	v_mfma_f32_16x16x32_fp8_fp8 v[64:67], a[90:91], v[210:211], v[64:67]// 0000000073B4: D3F30040 0D03A55A
	v_mfma_f32_16x16x32_fp8_fp8 v[64:67], a[92:93], v[212:213], v[64:67]// 0000000073BC: D3F30040 0D03A95C
	v_mfma_f32_16x16x32_fp8_fp8 v[64:67], a[94:95], v[214:215], v[64:67]// 0000000073C4: D3F30040 0D03AD5E
	v_mfma_f32_16x16x32_fp8_fp8 v[68:71], a[80:81], v[216:217], v[68:71]// 0000000073CC: D3F30044 0D13B150
	buffer_load_dwordx4 a[8:11], v34, s[24:27], 0 offen offset:2048// 0000000073D4: E05C1800 80860822
	v_mfma_f32_16x16x32_fp8_fp8 v[68:71], a[82:83], v[218:219], v[68:71]// 0000000073DC: D3F30044 0D13B552
	v_mfma_f32_16x16x32_fp8_fp8 v[68:71], a[84:85], v[220:221], v[68:71]// 0000000073E4: D3F30044 0D13B954
	v_mfma_f32_16x16x32_fp8_fp8 v[68:71], a[86:87], v[222:223], v[68:71]// 0000000073EC: D3F30044 0D13BD56
	v_mfma_f32_16x16x32_fp8_fp8 v[68:71], a[88:89], v[224:225], v[68:71]// 0000000073F4: D3F30044 0D13C158
	buffer_load_dwordx4 a[12:15], v34, s[24:27], 0 offen offset:3072// 0000000073FC: E05C1C00 80860C22
	v_mfma_f32_16x16x32_fp8_fp8 v[68:71], a[90:91], v[226:227], v[68:71]// 000000007404: D3F30044 0D13C55A
	v_mfma_f32_16x16x32_fp8_fp8 v[68:71], a[92:93], v[228:229], v[68:71]// 00000000740C: D3F30044 0D13C95C
	v_mfma_f32_16x16x32_fp8_fp8 v[68:71], a[94:95], v[230:231], v[68:71]// 000000007414: D3F30044 0D13CD5E
	v_mfma_f32_16x16x32_fp8_fp8 v[72:75], a[96:97], v[200:201], v[72:75]// 00000000741C: D3F30048 0D239160
	buffer_load_dwordx4 a[16:19], v35, s[24:27], 0 offen       // 000000007424: E05C1000 80861023
	v_mfma_f32_16x16x32_fp8_fp8 v[72:75], a[98:99], v[202:203], v[72:75]// 00000000742C: D3F30048 0D239562
	v_mfma_f32_16x16x32_fp8_fp8 v[72:75], a[100:101], v[204:205], v[72:75]// 000000007434: D3F30048 0D239964
	v_mfma_f32_16x16x32_fp8_fp8 v[72:75], a[102:103], v[206:207], v[72:75]// 00000000743C: D3F30048 0D239D66
	v_mfma_f32_16x16x32_fp8_fp8 v[72:75], a[104:105], v[208:209], v[72:75]// 000000007444: D3F30048 0D23A168
	buffer_load_dwordx4 a[20:23], v35, s[24:27], 0 offen offset:1024// 00000000744C: E05C1400 80861423
	v_mfma_f32_16x16x32_fp8_fp8 v[72:75], a[106:107], v[210:211], v[72:75]// 000000007454: D3F30048 0D23A56A
	v_mfma_f32_16x16x32_fp8_fp8 v[72:75], a[108:109], v[212:213], v[72:75]// 00000000745C: D3F30048 0D23A96C
	v_mfma_f32_16x16x32_fp8_fp8 v[72:75], a[110:111], v[214:215], v[72:75]// 000000007464: D3F30048 0D23AD6E
	v_mfma_f32_16x16x32_fp8_fp8 v[76:79], a[96:97], v[216:217], v[76:79]// 00000000746C: D3F3004C 0D33B160
	buffer_load_dwordx4 a[24:27], v35, s[24:27], 0 offen offset:2048// 000000007474: E05C1800 80861823
	v_mfma_f32_16x16x32_fp8_fp8 v[76:79], a[98:99], v[218:219], v[76:79]// 00000000747C: D3F3004C 0D33B562
	v_mfma_f32_16x16x32_fp8_fp8 v[76:79], a[100:101], v[220:221], v[76:79]// 000000007484: D3F3004C 0D33B964
	v_mfma_f32_16x16x32_fp8_fp8 v[76:79], a[102:103], v[222:223], v[76:79]// 00000000748C: D3F3004C 0D33BD66
	v_mfma_f32_16x16x32_fp8_fp8 v[76:79], a[104:105], v[224:225], v[76:79]// 000000007494: D3F3004C 0D33C168
	buffer_load_dwordx4 a[28:31], v35, s[24:27], 0 offen offset:3072// 00000000749C: E05C1C00 80861C23
	v_mfma_f32_16x16x32_fp8_fp8 v[76:79], a[106:107], v[226:227], v[76:79]// 0000000074A4: D3F3004C 0D33C56A
	v_mfma_f32_16x16x32_fp8_fp8 v[76:79], a[108:109], v[228:229], v[76:79]// 0000000074AC: D3F3004C 0D33C96C
	v_mfma_f32_16x16x32_fp8_fp8 v[76:79], a[110:111], v[230:231], v[76:79]// 0000000074B4: D3F3004C 0D33CD6E
	s_waitcnt vmcnt(16)                                        // 0000000074BC: BF8C4F70
	v_mfma_f32_16x16x32_fp8_fp8 v[80:83], a[112:113], v[200:201], v[80:83]// 0000000074C0: D3F30050 0D439170
	buffer_load_dwordx4 a[32:35], v36, s[24:27], 0 offen       // 0000000074C8: E05C1000 80862024
	v_mfma_f32_16x16x32_fp8_fp8 v[80:83], a[114:115], v[202:203], v[80:83]// 0000000074D0: D3F30050 0D439572
	v_mfma_f32_16x16x32_fp8_fp8 v[80:83], a[116:117], v[204:205], v[80:83]// 0000000074D8: D3F30050 0D439974
	ds_read_b128 v[168:171], v2                                // 0000000074E0: D9FE0000 A8000002
	v_mfma_f32_16x16x32_fp8_fp8 v[80:83], a[118:119], v[206:207], v[80:83]// 0000000074E8: D3F30050 0D439D76
	v_mfma_f32_16x16x32_fp8_fp8 v[80:83], a[120:121], v[208:209], v[80:83]// 0000000074F0: D3F30050 0D43A178
	buffer_load_dwordx4 a[36:39], v36, s[24:27], 0 offen offset:1024// 0000000074F8: E05C1400 80862424
	v_mfma_f32_16x16x32_fp8_fp8 v[80:83], a[122:123], v[210:211], v[80:83]// 000000007500: D3F30050 0D43A57A
	v_mfma_f32_16x16x32_fp8_fp8 v[80:83], a[124:125], v[212:213], v[80:83]// 000000007508: D3F30050 0D43A97C
	ds_read_b128 v[172:175], v2 offset:64                      // 000000007510: D9FE0040 AC000002
	v_mfma_f32_16x16x32_fp8_fp8 v[80:83], a[126:127], v[214:215], v[80:83]// 000000007518: D3F30050 0D43AD7E
	v_mfma_f32_16x16x32_fp8_fp8 v[84:87], a[112:113], v[216:217], v[84:87]// 000000007520: D3F30054 0D53B170
	buffer_load_dwordx4 a[40:43], v36, s[24:27], 0 offen offset:2048// 000000007528: E05C1800 80862824
	v_mfma_f32_16x16x32_fp8_fp8 v[84:87], a[114:115], v[218:219], v[84:87]// 000000007530: D3F30054 0D53B572
	v_mfma_f32_16x16x32_fp8_fp8 v[84:87], a[116:117], v[220:221], v[84:87]// 000000007538: D3F30054 0D53B974
	ds_read_b128 v[176:179], v2 offset:128                     // 000000007540: D9FE0080 B0000002
	v_mfma_f32_16x16x32_fp8_fp8 v[84:87], a[118:119], v[222:223], v[84:87]// 000000007548: D3F30054 0D53BD76
	v_mfma_f32_16x16x32_fp8_fp8 v[84:87], a[120:121], v[224:225], v[84:87]// 000000007550: D3F30054 0D53C178
	buffer_load_dwordx4 a[44:47], v36, s[24:27], 0 offen offset:3072// 000000007558: E05C1C00 80862C24
	v_mfma_f32_16x16x32_fp8_fp8 v[84:87], a[122:123], v[226:227], v[84:87]// 000000007560: D3F30054 0D53C57A
	v_mfma_f32_16x16x32_fp8_fp8 v[84:87], a[124:125], v[228:229], v[84:87]// 000000007568: D3F30054 0D53C97C
	ds_read_b128 v[180:183], v2 offset:192                     // 000000007570: D9FE00C0 B4000002
	v_mfma_f32_16x16x32_fp8_fp8 v[84:87], a[126:127], v[230:231], v[84:87]// 000000007578: D3F30054 0D53CD7E
	s_waitcnt vmcnt(16)                                        // 000000007580: BF8C4F70
	v_mfma_f32_16x16x32_fp8_fp8 v[88:91], a[128:129], v[200:201], v[88:91]// 000000007584: D3F30058 0D639180
	buffer_load_dwordx4 a[48:51], v37, s[24:27], 0 offen       // 00000000758C: E05C1000 80863025
	v_mfma_f32_16x16x32_fp8_fp8 v[88:91], a[130:131], v[202:203], v[88:91]// 000000007594: D3F30058 0D639582
	v_mfma_f32_16x16x32_fp8_fp8 v[88:91], a[132:133], v[204:205], v[88:91]// 00000000759C: D3F30058 0D639984
	ds_read_b128 v[184:187], v2 offset:1024                    // 0000000075A4: D9FE0400 B8000002
	v_mfma_f32_16x16x32_fp8_fp8 v[88:91], a[134:135], v[206:207], v[88:91]// 0000000075AC: D3F30058 0D639D86
	v_mfma_f32_16x16x32_fp8_fp8 v[88:91], a[136:137], v[208:209], v[88:91]// 0000000075B4: D3F30058 0D63A188
	buffer_load_dwordx4 a[52:55], v37, s[24:27], 0 offen offset:1024// 0000000075BC: E05C1400 80863425
	v_mfma_f32_16x16x32_fp8_fp8 v[88:91], a[138:139], v[210:211], v[88:91]// 0000000075C4: D3F30058 0D63A58A
	v_mfma_f32_16x16x32_fp8_fp8 v[88:91], a[140:141], v[212:213], v[88:91]// 0000000075CC: D3F30058 0D63A98C
	ds_read_b128 v[188:191], v2 offset:1088                    // 0000000075D4: D9FE0440 BC000002
	v_mfma_f32_16x16x32_fp8_fp8 v[88:91], a[142:143], v[214:215], v[88:91]// 0000000075DC: D3F30058 0D63AD8E
	v_mfma_f32_16x16x32_fp8_fp8 v[92:95], a[128:129], v[216:217], v[92:95]// 0000000075E4: D3F3005C 0D73B180
	buffer_load_dwordx4 a[56:59], v37, s[24:27], 0 offen offset:2048// 0000000075EC: E05C1800 80863825
	v_mfma_f32_16x16x32_fp8_fp8 v[92:95], a[130:131], v[218:219], v[92:95]// 0000000075F4: D3F3005C 0D73B582
	v_mfma_f32_16x16x32_fp8_fp8 v[92:95], a[132:133], v[220:221], v[92:95]// 0000000075FC: D3F3005C 0D73B984
	ds_read_b128 v[192:195], v2 offset:1152                    // 000000007604: D9FE0480 C0000002
	v_mfma_f32_16x16x32_fp8_fp8 v[92:95], a[134:135], v[222:223], v[92:95]// 00000000760C: D3F3005C 0D73BD86
	v_mfma_f32_16x16x32_fp8_fp8 v[92:95], a[136:137], v[224:225], v[92:95]// 000000007614: D3F3005C 0D73C188
	buffer_load_dwordx4 a[60:63], v37, s[24:27], 0 offen offset:3072// 00000000761C: E05C1C00 80863C25
	v_mfma_f32_16x16x32_fp8_fp8 v[92:95], a[138:139], v[226:227], v[92:95]// 000000007624: D3F3005C 0D73C58A
	v_mfma_f32_16x16x32_fp8_fp8 v[92:95], a[140:141], v[228:229], v[92:95]// 00000000762C: D3F3005C 0D73C98C
	ds_read_b128 v[196:199], v2 offset:1216                    // 000000007634: D9FE04C0 C4000002
	v_mfma_f32_16x16x32_fp8_fp8 v[92:95], a[142:143], v[230:231], v[92:95]// 00000000763C: D3F3005C 0D73CD8E
	s_waitcnt vmcnt(16)                                        // 000000007644: BF8C4F70
	v_mfma_f32_16x16x32_fp8_fp8 v[96:99], a[144:145], v[200:201], v[96:99]// 000000007648: D3F30060 0D839190
	buffer_load_dwordx4 a[64:67], v38, s[24:27], 0 offen       // 000000007650: E05C1000 80864026
	v_mfma_f32_16x16x32_fp8_fp8 v[96:99], a[146:147], v[202:203], v[96:99]// 000000007658: D3F30060 0D839592
	v_mfma_f32_16x16x32_fp8_fp8 v[96:99], a[148:149], v[204:205], v[96:99]// 000000007660: D3F30060 0D839994
	v_mfma_f32_16x16x32_fp8_fp8 v[96:99], a[150:151], v[206:207], v[96:99]// 000000007668: D3F30060 0D839D96
	v_mfma_f32_16x16x32_fp8_fp8 v[96:99], a[152:153], v[208:209], v[96:99]// 000000007670: D3F30060 0D83A198
	buffer_load_dwordx4 a[68:71], v38, s[24:27], 0 offen offset:1024// 000000007678: E05C1400 80864426
	v_mfma_f32_16x16x32_fp8_fp8 v[96:99], a[154:155], v[210:211], v[96:99]// 000000007680: D3F30060 0D83A59A
	v_mfma_f32_16x16x32_fp8_fp8 v[96:99], a[156:157], v[212:213], v[96:99]// 000000007688: D3F30060 0D83A99C
	v_mfma_f32_16x16x32_fp8_fp8 v[96:99], a[158:159], v[214:215], v[96:99]// 000000007690: D3F30060 0D83AD9E
	v_mfma_f32_16x16x32_fp8_fp8 v[100:103], a[144:145], v[216:217], v[100:103]// 000000007698: D3F30064 0D93B190
	buffer_load_dwordx4 a[72:75], v38, s[24:27], 0 offen offset:2048// 0000000076A0: E05C1800 80864826
	v_mfma_f32_16x16x32_fp8_fp8 v[100:103], a[146:147], v[218:219], v[100:103]// 0000000076A8: D3F30064 0D93B592
	v_mfma_f32_16x16x32_fp8_fp8 v[100:103], a[148:149], v[220:221], v[100:103]// 0000000076B0: D3F30064 0D93B994
	v_mfma_f32_16x16x32_fp8_fp8 v[100:103], a[150:151], v[222:223], v[100:103]// 0000000076B8: D3F30064 0D93BD96
	v_mfma_f32_16x16x32_fp8_fp8 v[100:103], a[152:153], v[224:225], v[100:103]// 0000000076C0: D3F30064 0D93C198
	buffer_load_dwordx4 a[76:79], v38, s[24:27], 0 offen offset:3072// 0000000076C8: E05C1C00 80864C26
	v_mfma_f32_16x16x32_fp8_fp8 v[100:103], a[154:155], v[226:227], v[100:103]// 0000000076D0: D3F30064 0D93C59A
	v_mfma_f32_16x16x32_fp8_fp8 v[100:103], a[156:157], v[228:229], v[100:103]// 0000000076D8: D3F30064 0D93C99C
	v_mfma_f32_16x16x32_fp8_fp8 v[100:103], a[158:159], v[230:231], v[100:103]// 0000000076E0: D3F30064 0D93CD9E
	s_add_u32 s60, 0x200, s80                                  // 0000000076E8: 803C50FF 00000200
	s_cmp_lt_u32 s60, s81                                      // 0000000076F0: BF0A513C
	s_cselect_b32 s57, s57, 0                                  // 0000000076F4: 85398039
	s_add_u32 s60, 0x200, s80                                  // 0000000076F8: 803C50FF 00000200
	s_cmp_lt_u32 s60, s81                                      // 000000007700: BF0A513C
	s_cselect_b32 s58, s58, 0                                  // 000000007704: 853A803A
	s_add_u32 s20, s57, s20                                    // 000000007708: 80141439
	s_addc_u32 s21, 0, s21                                     // 00000000770C: 82151580
	s_add_u32 s24, s58, s24                                    // 000000007710: 8018183A
	s_addc_u32 s25, 0, s25                                     // 000000007714: 82191980
	s_add_u32 s92, s90, s92                                    // 000000007718: 805C5C5A
	s_addc_u32 s93, 0, s93                                     // 00000000771C: 825D5D80
	s_addk_i32 s80, 0x100                                      // 000000007720: B7500100
	s_cmp_lt_i32 s80, s81                                      // 000000007724: BF045150
	s_cbranch_scc0 label_124C                                  // 000000007728: BF840001
	s_branch label_0E97                                        // 00000000772C: BF82FC4B

0000000000007730 <label_124C>:
	s_mov_b32 s36, -1                                          // 000000007730: BEA400C1
	s_mov_b32 s37, -1                                          // 000000007734: BEA500C1
	s_mov_b64 s[60:61], 0                                      // 000000007738: BEBC0180
	s_cmp_lt_u32 s82, s66                                      // 00000000773C: BF0A4252
	s_cselect_b64 s[20:21], s[36:37], s[60:61]                 // 000000007740: 85943C24
	s_cmp_lt_u32 s83, s66                                      // 000000007744: BF0A4253
	s_cselect_b64 s[22:23], s[36:37], s[60:61]                 // 000000007748: 85963C24
	s_cmp_lt_u32 s84, s66                                      // 00000000774C: BF0A4254
	s_cselect_b64 s[24:25], s[36:37], s[60:61]                 // 000000007750: 85983C24
	s_cmp_lt_u32 s85, s66                                      // 000000007754: BF0A4255
	s_cselect_b64 s[26:27], s[36:37], s[60:61]                 // 000000007758: 859A3C24
	s_cmp_lt_u32 s86, s66                                      // 00000000775C: BF0A4256
	s_cselect_b64 s[28:29], s[36:37], s[60:61]                 // 000000007760: 859C3C24
	s_cmp_lt_u32 s87, s66                                      // 000000007764: BF0A4257
	s_cselect_b64 s[30:31], s[36:37], s[60:61]                 // 000000007768: 859E3C24
	s_cmp_lt_u32 s88, s66                                      // 00000000776C: BF0A4258
	s_cselect_b64 s[32:33], s[36:37], s[60:61]                 // 000000007770: 85A03C24
	s_cmp_lt_u32 s89, s66                                      // 000000007774: BF0A4259
	s_cselect_b64 s[34:35], s[36:37], s[60:61]                 // 000000007778: 85A23C24
	v_mul_f32_e32 v128, v14, v128                              // 00000000777C: 0B01010E
	v_mul_f32_e32 v129, v14, v129                              // 000000007780: 0B03030E
	v_mul_f32_e32 v130, v14, v130                              // 000000007784: 0B05050E
	v_mul_f32_e32 v131, v14, v131                              // 000000007788: 0B07070E
	v_mul_f32_dpp v128, v16, v128 row_newbcast:0 row_mask:0xf bank_mask:0xf// 00000000778C: 0B0100FA FF015010
	v_mul_f32_dpp v129, v16, v129 row_newbcast:1 row_mask:0xf bank_mask:0xf// 000000007794: 0B0302FA FF015110
	v_mul_f32_dpp v130, v16, v130 row_newbcast:2 row_mask:0xf bank_mask:0xf// 00000000779C: 0B0504FA FF015210
	v_mul_f32_dpp v131, v16, v131 row_newbcast:3 row_mask:0xf bank_mask:0xf// 0000000077A4: 0B0706FA FF015310
	v_mul_f32_e32 v132, v15, v132                              // 0000000077AC: 0B09090F
	v_mul_f32_e32 v133, v15, v133                              // 0000000077B0: 0B0B0B0F
	v_mul_f32_e32 v134, v15, v134                              // 0000000077B4: 0B0D0D0F
	v_mul_f32_e32 v135, v15, v135                              // 0000000077B8: 0B0F0F0F
	v_mul_f32_dpp v132, v16, v132 row_newbcast:0 row_mask:0xf bank_mask:0xf// 0000000077BC: 0B0908FA FF015010
	v_mul_f32_dpp v133, v16, v133 row_newbcast:1 row_mask:0xf bank_mask:0xf// 0000000077C4: 0B0B0AFA FF015110
	v_mul_f32_dpp v134, v16, v134 row_newbcast:2 row_mask:0xf bank_mask:0xf// 0000000077CC: 0B0D0CFA FF015210
	v_mul_f32_dpp v135, v16, v135 row_newbcast:3 row_mask:0xf bank_mask:0xf// 0000000077D4: 0B0F0EFA FF015310
	v_mul_f32_e32 v136, v14, v136                              // 0000000077DC: 0B11110E
	v_mul_f32_e32 v137, v14, v137                              // 0000000077E0: 0B13130E
	v_mul_f32_e32 v138, v14, v138                              // 0000000077E4: 0B15150E
	v_mul_f32_e32 v139, v14, v139                              // 0000000077E8: 0B17170E
	v_mul_f32_dpp v136, v16, v136 row_newbcast:4 row_mask:0xf bank_mask:0xf// 0000000077EC: 0B1110FA FF015410
	v_mul_f32_dpp v137, v16, v137 row_newbcast:5 row_mask:0xf bank_mask:0xf// 0000000077F4: 0B1312FA FF015510
	v_mul_f32_dpp v138, v16, v138 row_newbcast:6 row_mask:0xf bank_mask:0xf// 0000000077FC: 0B1514FA FF015610
	v_mul_f32_dpp v139, v16, v139 row_newbcast:7 row_mask:0xf bank_mask:0xf// 000000007804: 0B1716FA FF015710
	v_mul_f32_e32 v140, v15, v140                              // 00000000780C: 0B19190F
	v_mul_f32_e32 v141, v15, v141                              // 000000007810: 0B1B1B0F
	v_mul_f32_e32 v142, v15, v142                              // 000000007814: 0B1D1D0F
	v_mul_f32_e32 v143, v15, v143                              // 000000007818: 0B1F1F0F
	v_mul_f32_dpp v140, v16, v140 row_newbcast:4 row_mask:0xf bank_mask:0xf// 00000000781C: 0B1918FA FF015410
	v_mul_f32_dpp v141, v16, v141 row_newbcast:5 row_mask:0xf bank_mask:0xf// 000000007824: 0B1B1AFA FF015510
	v_mul_f32_dpp v142, v16, v142 row_newbcast:6 row_mask:0xf bank_mask:0xf// 00000000782C: 0B1D1CFA FF015610
	v_mul_f32_dpp v143, v16, v143 row_newbcast:7 row_mask:0xf bank_mask:0xf// 000000007834: 0B1F1EFA FF015710
	v_mul_f32_e32 v144, v14, v144                              // 00000000783C: 0B21210E
	v_mul_f32_e32 v145, v14, v145                              // 000000007840: 0B23230E
	v_mul_f32_e32 v146, v14, v146                              // 000000007844: 0B25250E
	v_mul_f32_e32 v147, v14, v147                              // 000000007848: 0B27270E
	v_mul_f32_dpp v144, v16, v144 row_newbcast:8 row_mask:0xf bank_mask:0xf// 00000000784C: 0B2120FA FF015810
	v_mul_f32_dpp v145, v16, v145 row_newbcast:9 row_mask:0xf bank_mask:0xf// 000000007854: 0B2322FA FF015910
	v_mul_f32_dpp v146, v16, v146 row_newbcast:10 row_mask:0xf bank_mask:0xf// 00000000785C: 0B2524FA FF015A10
	v_mul_f32_dpp v147, v16, v147 row_newbcast:11 row_mask:0xf bank_mask:0xf// 000000007864: 0B2726FA FF015B10
	v_mul_f32_e32 v148, v15, v148                              // 00000000786C: 0B29290F
	v_mul_f32_e32 v149, v15, v149                              // 000000007870: 0B2B2B0F
	v_mul_f32_e32 v150, v15, v150                              // 000000007874: 0B2D2D0F
	v_mul_f32_e32 v151, v15, v151                              // 000000007878: 0B2F2F0F
	v_mul_f32_dpp v148, v16, v148 row_newbcast:8 row_mask:0xf bank_mask:0xf// 00000000787C: 0B2928FA FF015810
	v_mul_f32_dpp v149, v16, v149 row_newbcast:9 row_mask:0xf bank_mask:0xf// 000000007884: 0B2B2AFA FF015910
	v_mul_f32_dpp v150, v16, v150 row_newbcast:10 row_mask:0xf bank_mask:0xf// 00000000788C: 0B2D2CFA FF015A10
	v_mul_f32_dpp v151, v16, v151 row_newbcast:11 row_mask:0xf bank_mask:0xf// 000000007894: 0B2F2EFA FF015B10
	v_mul_f32_e32 v152, v14, v152                              // 00000000789C: 0B31310E
	v_mul_f32_e32 v153, v14, v153                              // 0000000078A0: 0B33330E
	v_mul_f32_e32 v154, v14, v154                              // 0000000078A4: 0B35350E
	v_mul_f32_e32 v155, v14, v155                              // 0000000078A8: 0B37370E
	v_mul_f32_dpp v152, v16, v152 row_newbcast:12 row_mask:0xf bank_mask:0xf// 0000000078AC: 0B3130FA FF015C10
	v_mul_f32_dpp v153, v16, v153 row_newbcast:13 row_mask:0xf bank_mask:0xf// 0000000078B4: 0B3332FA FF015D10
	v_mul_f32_dpp v154, v16, v154 row_newbcast:14 row_mask:0xf bank_mask:0xf// 0000000078BC: 0B3534FA FF015E10
	v_mul_f32_dpp v155, v16, v155 row_newbcast:15 row_mask:0xf bank_mask:0xf// 0000000078C4: 0B3736FA FF015F10
	v_mul_f32_e32 v156, v15, v156                              // 0000000078CC: 0B39390F
	v_mul_f32_e32 v157, v15, v157                              // 0000000078D0: 0B3B3B0F
	v_mul_f32_e32 v158, v15, v158                              // 0000000078D4: 0B3D3D0F
	v_mul_f32_e32 v159, v15, v159                              // 0000000078D8: 0B3F3F0F
	v_mul_f32_dpp v156, v16, v156 row_newbcast:12 row_mask:0xf bank_mask:0xf// 0000000078DC: 0B3938FA FF015C10
	v_mul_f32_dpp v157, v16, v157 row_newbcast:13 row_mask:0xf bank_mask:0xf// 0000000078E4: 0B3B3AFA FF015D10
	v_mul_f32_dpp v158, v16, v158 row_newbcast:14 row_mask:0xf bank_mask:0xf// 0000000078EC: 0B3D3CFA FF015E10
	v_mul_f32_dpp v159, v16, v159 row_newbcast:15 row_mask:0xf bank_mask:0xf// 0000000078F4: 0B3F3EFA FF015F10
	v_mul_f32_e32 v160, v14, v160                              // 0000000078FC: 0B41410E
	v_mul_f32_e32 v161, v14, v161                              // 000000007900: 0B43430E
	v_mul_f32_e32 v162, v14, v162                              // 000000007904: 0B45450E
	v_mul_f32_e32 v163, v14, v163                              // 000000007908: 0B47470E
	v_mul_f32_dpp v160, v17, v160 row_newbcast:0 row_mask:0xf bank_mask:0xf// 00000000790C: 0B4140FA FF015011
	v_mul_f32_dpp v161, v17, v161 row_newbcast:1 row_mask:0xf bank_mask:0xf// 000000007914: 0B4342FA FF015111
	v_mul_f32_dpp v162, v17, v162 row_newbcast:2 row_mask:0xf bank_mask:0xf// 00000000791C: 0B4544FA FF015211
	v_mul_f32_dpp v163, v17, v163 row_newbcast:3 row_mask:0xf bank_mask:0xf// 000000007924: 0B4746FA FF015311
	v_mul_f32_e32 v164, v15, v164                              // 00000000792C: 0B49490F
	v_mul_f32_e32 v165, v15, v165                              // 000000007930: 0B4B4B0F
	v_mul_f32_e32 v166, v15, v166                              // 000000007934: 0B4D4D0F
	v_mul_f32_e32 v167, v15, v167                              // 000000007938: 0B4F4F0F
	v_mul_f32_dpp v164, v17, v164 row_newbcast:0 row_mask:0xf bank_mask:0xf// 00000000793C: 0B4948FA FF015011
	v_mul_f32_dpp v165, v17, v165 row_newbcast:1 row_mask:0xf bank_mask:0xf// 000000007944: 0B4B4AFA FF015111
	v_mul_f32_dpp v166, v17, v166 row_newbcast:2 row_mask:0xf bank_mask:0xf// 00000000794C: 0B4D4CFA FF015211
	v_mul_f32_dpp v167, v17, v167 row_newbcast:3 row_mask:0xf bank_mask:0xf// 000000007954: 0B4F4EFA FF015311
	v_mul_f32_e32 v64, v14, v64                                // 00000000795C: 0A80810E
	v_mul_f32_e32 v65, v14, v65                                // 000000007960: 0A82830E
	v_mul_f32_e32 v66, v14, v66                                // 000000007964: 0A84850E
	v_mul_f32_e32 v67, v14, v67                                // 000000007968: 0A86870E
	v_mul_f32_dpp v64, v47, v64 row_newbcast:0 row_mask:0xf bank_mask:0xf// 00000000796C: 0A8080FA FF01502F
	v_mul_f32_dpp v65, v47, v65 row_newbcast:1 row_mask:0xf bank_mask:0xf// 000000007974: 0A8282FA FF01512F
	v_mul_f32_dpp v66, v47, v66 row_newbcast:2 row_mask:0xf bank_mask:0xf// 00000000797C: 0A8484FA FF01522F
	v_mul_f32_dpp v67, v47, v67 row_newbcast:3 row_mask:0xf bank_mask:0xf// 000000007984: 0A8686FA FF01532F
	v_mul_f32_e32 v68, v15, v68                                // 00000000798C: 0A88890F
	v_mul_f32_e32 v69, v15, v69                                // 000000007990: 0A8A8B0F
	v_mul_f32_e32 v70, v15, v70                                // 000000007994: 0A8C8D0F
	v_mul_f32_e32 v71, v15, v71                                // 000000007998: 0A8E8F0F
	v_mul_f32_dpp v68, v47, v68 row_newbcast:0 row_mask:0xf bank_mask:0xf// 00000000799C: 0A8888FA FF01502F
	v_mul_f32_dpp v69, v47, v69 row_newbcast:1 row_mask:0xf bank_mask:0xf// 0000000079A4: 0A8A8AFA FF01512F
	v_mul_f32_dpp v70, v47, v70 row_newbcast:2 row_mask:0xf bank_mask:0xf// 0000000079AC: 0A8C8CFA FF01522F
	v_mul_f32_dpp v71, v47, v71 row_newbcast:3 row_mask:0xf bank_mask:0xf// 0000000079B4: 0A8E8EFA FF01532F
	v_mul_f32_e32 v72, v14, v72                                // 0000000079BC: 0A90910E
	v_mul_f32_e32 v73, v14, v73                                // 0000000079C0: 0A92930E
	v_mul_f32_e32 v74, v14, v74                                // 0000000079C4: 0A94950E
	v_mul_f32_e32 v75, v14, v75                                // 0000000079C8: 0A96970E
	v_mul_f32_dpp v72, v47, v72 row_newbcast:4 row_mask:0xf bank_mask:0xf// 0000000079CC: 0A9090FA FF01542F
	v_mul_f32_dpp v73, v47, v73 row_newbcast:5 row_mask:0xf bank_mask:0xf// 0000000079D4: 0A9292FA FF01552F
	v_mul_f32_dpp v74, v47, v74 row_newbcast:6 row_mask:0xf bank_mask:0xf// 0000000079DC: 0A9494FA FF01562F
	v_mul_f32_dpp v75, v47, v75 row_newbcast:7 row_mask:0xf bank_mask:0xf// 0000000079E4: 0A9696FA FF01572F
	v_mul_f32_e32 v76, v15, v76                                // 0000000079EC: 0A98990F
	v_mul_f32_e32 v77, v15, v77                                // 0000000079F0: 0A9A9B0F
	v_mul_f32_e32 v78, v15, v78                                // 0000000079F4: 0A9C9D0F
	v_mul_f32_e32 v79, v15, v79                                // 0000000079F8: 0A9E9F0F
	v_mul_f32_dpp v76, v47, v76 row_newbcast:4 row_mask:0xf bank_mask:0xf// 0000000079FC: 0A9898FA FF01542F
	v_mul_f32_dpp v77, v47, v77 row_newbcast:5 row_mask:0xf bank_mask:0xf// 000000007A04: 0A9A9AFA FF01552F
	v_mul_f32_dpp v78, v47, v78 row_newbcast:6 row_mask:0xf bank_mask:0xf// 000000007A0C: 0A9C9CFA FF01562F
	v_mul_f32_dpp v79, v47, v79 row_newbcast:7 row_mask:0xf bank_mask:0xf// 000000007A14: 0A9E9EFA FF01572F
	v_mul_f32_e32 v80, v14, v80                                // 000000007A1C: 0AA0A10E
	v_mul_f32_e32 v81, v14, v81                                // 000000007A20: 0AA2A30E
	v_mul_f32_e32 v82, v14, v82                                // 000000007A24: 0AA4A50E
	v_mul_f32_e32 v83, v14, v83                                // 000000007A28: 0AA6A70E
	v_mul_f32_dpp v80, v47, v80 row_newbcast:8 row_mask:0xf bank_mask:0xf// 000000007A2C: 0AA0A0FA FF01582F
	v_mul_f32_dpp v81, v47, v81 row_newbcast:9 row_mask:0xf bank_mask:0xf// 000000007A34: 0AA2A2FA FF01592F
	v_mul_f32_dpp v82, v47, v82 row_newbcast:10 row_mask:0xf bank_mask:0xf// 000000007A3C: 0AA4A4FA FF015A2F
	v_mul_f32_dpp v83, v47, v83 row_newbcast:11 row_mask:0xf bank_mask:0xf// 000000007A44: 0AA6A6FA FF015B2F
	v_mul_f32_e32 v84, v15, v84                                // 000000007A4C: 0AA8A90F
	v_mul_f32_e32 v85, v15, v85                                // 000000007A50: 0AAAAB0F
	v_mul_f32_e32 v86, v15, v86                                // 000000007A54: 0AACAD0F
	v_mul_f32_e32 v87, v15, v87                                // 000000007A58: 0AAEAF0F
	v_mul_f32_dpp v84, v47, v84 row_newbcast:8 row_mask:0xf bank_mask:0xf// 000000007A5C: 0AA8A8FA FF01582F
	v_mul_f32_dpp v85, v47, v85 row_newbcast:9 row_mask:0xf bank_mask:0xf// 000000007A64: 0AAAAAFA FF01592F
	v_mul_f32_dpp v86, v47, v86 row_newbcast:10 row_mask:0xf bank_mask:0xf// 000000007A6C: 0AACACFA FF015A2F
	v_mul_f32_dpp v87, v47, v87 row_newbcast:11 row_mask:0xf bank_mask:0xf// 000000007A74: 0AAEAEFA FF015B2F
	v_mul_f32_e32 v88, v14, v88                                // 000000007A7C: 0AB0B10E
	v_mul_f32_e32 v89, v14, v89                                // 000000007A80: 0AB2B30E
	v_mul_f32_e32 v90, v14, v90                                // 000000007A84: 0AB4B50E
	v_mul_f32_e32 v91, v14, v91                                // 000000007A88: 0AB6B70E
	v_mul_f32_dpp v88, v47, v88 row_newbcast:12 row_mask:0xf bank_mask:0xf// 000000007A8C: 0AB0B0FA FF015C2F
	v_mul_f32_dpp v89, v47, v89 row_newbcast:13 row_mask:0xf bank_mask:0xf// 000000007A94: 0AB2B2FA FF015D2F
	v_mul_f32_dpp v90, v47, v90 row_newbcast:14 row_mask:0xf bank_mask:0xf// 000000007A9C: 0AB4B4FA FF015E2F
	v_mul_f32_dpp v91, v47, v91 row_newbcast:15 row_mask:0xf bank_mask:0xf// 000000007AA4: 0AB6B6FA FF015F2F
	v_mul_f32_e32 v92, v15, v92                                // 000000007AAC: 0AB8B90F
	v_mul_f32_e32 v93, v15, v93                                // 000000007AB0: 0ABABB0F
	v_mul_f32_e32 v94, v15, v94                                // 000000007AB4: 0ABCBD0F
	v_mul_f32_e32 v95, v15, v95                                // 000000007AB8: 0ABEBF0F
	v_mul_f32_dpp v92, v47, v92 row_newbcast:12 row_mask:0xf bank_mask:0xf// 000000007ABC: 0AB8B8FA FF015C2F
	v_mul_f32_dpp v93, v47, v93 row_newbcast:13 row_mask:0xf bank_mask:0xf// 000000007AC4: 0ABABAFA FF015D2F
	v_mul_f32_dpp v94, v47, v94 row_newbcast:14 row_mask:0xf bank_mask:0xf// 000000007ACC: 0ABCBCFA FF015E2F
	v_mul_f32_dpp v95, v47, v95 row_newbcast:15 row_mask:0xf bank_mask:0xf// 000000007AD4: 0ABEBEFA FF015F2F
	v_mul_f32_e32 v96, v14, v96                                // 000000007ADC: 0AC0C10E
	v_mul_f32_e32 v97, v14, v97                                // 000000007AE0: 0AC2C30E
	v_mul_f32_e32 v98, v14, v98                                // 000000007AE4: 0AC4C50E
	v_mul_f32_e32 v99, v14, v99                                // 000000007AE8: 0AC6C70E
	v_mul_f32_dpp v96, v48, v96 row_newbcast:0 row_mask:0xf bank_mask:0xf// 000000007AEC: 0AC0C0FA FF015030
	v_mul_f32_dpp v97, v48, v97 row_newbcast:1 row_mask:0xf bank_mask:0xf// 000000007AF4: 0AC2C2FA FF015130
	v_mul_f32_dpp v98, v48, v98 row_newbcast:2 row_mask:0xf bank_mask:0xf// 000000007AFC: 0AC4C4FA FF015230
	v_mul_f32_dpp v99, v48, v99 row_newbcast:3 row_mask:0xf bank_mask:0xf// 000000007B04: 0AC6C6FA FF015330
	v_mul_f32_e32 v100, v15, v100                              // 000000007B0C: 0AC8C90F
	v_mul_f32_e32 v101, v15, v101                              // 000000007B10: 0ACACB0F
	v_mul_f32_e32 v102, v15, v102                              // 000000007B14: 0ACCCD0F
	v_mul_f32_e32 v103, v15, v103                              // 000000007B18: 0ACECF0F
	v_mul_f32_dpp v100, v48, v100 row_newbcast:0 row_mask:0xf bank_mask:0xf// 000000007B1C: 0AC8C8FA FF015030
	v_mul_f32_dpp v101, v48, v101 row_newbcast:1 row_mask:0xf bank_mask:0xf// 000000007B24: 0ACACAFA FF015130
	v_mul_f32_dpp v102, v48, v102 row_newbcast:2 row_mask:0xf bank_mask:0xf// 000000007B2C: 0ACCCCFA FF015230
	v_mul_f32_dpp v103, v48, v103 row_newbcast:3 row_mask:0xf bank_mask:0xf// 000000007B34: 0ACECEFA FF015330
	s_waitcnt vmcnt(16)                                        // 000000007B3C: BF8C4F70
	buffer_load_dwordx4 a[0:3], v39, s[12:15], 0 offen         // 000000007B40: E05C1000 80830027
	v_mul_f32_e64 v50, -v128, s6                               // 000000007B48: D1050032 20000D80
	v_mul_f32_e64 v51, -v129, s6                               // 000000007B50: D1050033 20000D81
	v_mul_f32_e64 v52, -v130, s6                               // 000000007B58: D1050034 20000D82
	v_mul_f32_e64 v53, -v131, s6                               // 000000007B60: D1050035 20000D83
	v_exp_f32_e32 v50, v50                                     // 000000007B68: 7E644132
	v_exp_f32_e32 v51, v51                                     // 000000007B6C: 7E664133
	v_exp_f32_e32 v52, v52                                     // 000000007B70: 7E684134
	v_exp_f32_e32 v53, v53                                     // 000000007B74: 7E6A4135
	buffer_load_dwordx4 a[4:7], v40, s[12:15], 0 offen         // 000000007B78: E05C1000 80830428
	v_add_f32_e64 v50, v50, 1.0                                // 000000007B80: D1010032 0001E532
	v_add_f32_e64 v51, v51, 1.0                                // 000000007B88: D1010033 0001E533
	v_add_f32_e64 v52, v52, 1.0                                // 000000007B90: D1010034 0001E534
	v_add_f32_e64 v53, v53, 1.0                                // 000000007B98: D1010035 0001E535
	v_rcp_f32_e32 v50, v50                                     // 000000007BA0: 7E644532
	v_rcp_f32_e32 v51, v51                                     // 000000007BA4: 7E664533
	v_rcp_f32_e32 v52, v52                                     // 000000007BA8: 7E684534
	v_rcp_f32_e32 v53, v53                                     // 000000007BAC: 7E6A4535
	v_mul_f32_e32 v128, v128, v50                              // 000000007BB0: 0B006580
	v_mul_f32_e32 v129, v129, v51                              // 000000007BB4: 0B026781
	v_mul_f32_e32 v130, v130, v52                              // 000000007BB8: 0B046982
	v_mul_f32_e32 v131, v131, v53                              // 000000007BBC: 0B066B83
	v_mul_f32_e32 v128, v128, v64                              // 000000007BC0: 0B008180
	v_mul_f32_e32 v129, v129, v65                              // 000000007BC4: 0B028381
	v_mul_f32_e32 v130, v130, v66                              // 000000007BC8: 0B048582
	v_mul_f32_e32 v131, v131, v67                              // 000000007BCC: 0B068783
	buffer_load_dwordx4 a[8:11], v41, s[12:15], 0 offen        // 000000007BD0: E05C1000 80830829
	v_mul_f32_e64 v50, -v132, s6                               // 000000007BD8: D1050032 20000D84
	v_mul_f32_e64 v51, -v133, s6                               // 000000007BE0: D1050033 20000D85
	v_mul_f32_e64 v52, -v134, s6                               // 000000007BE8: D1050034 20000D86
	v_mul_f32_e64 v53, -v135, s6                               // 000000007BF0: D1050035 20000D87
	v_exp_f32_e32 v50, v50                                     // 000000007BF8: 7E644132
	v_exp_f32_e32 v51, v51                                     // 000000007BFC: 7E664133
	v_exp_f32_e32 v52, v52                                     // 000000007C00: 7E684134
	v_exp_f32_e32 v53, v53                                     // 000000007C04: 7E6A4135
	buffer_load_dwordx4 a[12:15], v42, s[12:15], 0 offen       // 000000007C08: E05C1000 80830C2A
	s_add_u32 s12, s78, s12                                    // 000000007C10: 800C0C4E
	s_addc_u32 s13, 0, s13                                     // 000000007C14: 820D0D80
	v_add_f32_e64 v50, v50, 1.0                                // 000000007C18: D1010032 0001E532
	v_add_f32_e64 v51, v51, 1.0                                // 000000007C20: D1010033 0001E533
	v_add_f32_e64 v52, v52, 1.0                                // 000000007C28: D1010034 0001E534
	v_add_f32_e64 v53, v53, 1.0                                // 000000007C30: D1010035 0001E535
	v_rcp_f32_e32 v50, v50                                     // 000000007C38: 7E644532
	v_rcp_f32_e32 v51, v51                                     // 000000007C3C: 7E664533
	v_rcp_f32_e32 v52, v52                                     // 000000007C40: 7E684534
	v_rcp_f32_e32 v53, v53                                     // 000000007C44: 7E6A4535
	v_mul_f32_e32 v132, v132, v50                              // 000000007C48: 0B086584
	v_mul_f32_e32 v133, v133, v51                              // 000000007C4C: 0B0A6785
	v_mul_f32_e32 v134, v134, v52                              // 000000007C50: 0B0C6986
	v_mul_f32_e32 v135, v135, v53                              // 000000007C54: 0B0E6B87
	v_mul_f32_e32 v132, v132, v68                              // 000000007C58: 0B088984
	v_mul_f32_e32 v133, v133, v69                              // 000000007C5C: 0B0A8B85
	v_mul_f32_e32 v134, v134, v70                              // 000000007C60: 0B0C8D86
	v_mul_f32_e32 v135, v135, v71                              // 000000007C64: 0B0E8F87
	s_waitcnt vmcnt(16)                                        // 000000007C68: BF8C4F70
	buffer_load_dwordx4 a[16:19], v39, s[12:15], 0 offen       // 000000007C6C: E05C1000 80831027
	v_mul_f32_e64 v50, -v136, s6                               // 000000007C74: D1050032 20000D88
	v_mul_f32_e64 v51, -v137, s6                               // 000000007C7C: D1050033 20000D89
	v_mul_f32_e64 v52, -v138, s6                               // 000000007C84: D1050034 20000D8A
	v_mul_f32_e64 v53, -v139, s6                               // 000000007C8C: D1050035 20000D8B
	v_exp_f32_e32 v50, v50                                     // 000000007C94: 7E644132
	v_exp_f32_e32 v51, v51                                     // 000000007C98: 7E664133
	v_exp_f32_e32 v52, v52                                     // 000000007C9C: 7E684134
	v_exp_f32_e32 v53, v53                                     // 000000007CA0: 7E6A4135
	buffer_load_dwordx4 a[20:23], v40, s[12:15], 0 offen       // 000000007CA4: E05C1000 80831428
	v_add_f32_e64 v50, v50, 1.0                                // 000000007CAC: D1010032 0001E532
	v_add_f32_e64 v51, v51, 1.0                                // 000000007CB4: D1010033 0001E533
	v_add_f32_e64 v52, v52, 1.0                                // 000000007CBC: D1010034 0001E534
	v_add_f32_e64 v53, v53, 1.0                                // 000000007CC4: D1010035 0001E535
	v_rcp_f32_e32 v50, v50                                     // 000000007CCC: 7E644532
	v_rcp_f32_e32 v51, v51                                     // 000000007CD0: 7E664533
	v_rcp_f32_e32 v52, v52                                     // 000000007CD4: 7E684534
	v_rcp_f32_e32 v53, v53                                     // 000000007CD8: 7E6A4535
	v_mul_f32_e32 v136, v136, v50                              // 000000007CDC: 0B106588
	v_mul_f32_e32 v137, v137, v51                              // 000000007CE0: 0B126789
	v_mul_f32_e32 v138, v138, v52                              // 000000007CE4: 0B14698A
	v_mul_f32_e32 v139, v139, v53                              // 000000007CE8: 0B166B8B
	v_mul_f32_e32 v136, v136, v72                              // 000000007CEC: 0B109188
	v_mul_f32_e32 v137, v137, v73                              // 000000007CF0: 0B129389
	v_mul_f32_e32 v138, v138, v74                              // 000000007CF4: 0B14958A
	v_mul_f32_e32 v139, v139, v75                              // 000000007CF8: 0B16978B
	buffer_load_dwordx4 a[24:27], v41, s[12:15], 0 offen       // 000000007CFC: E05C1000 80831829
	v_mul_f32_e64 v50, -v140, s6                               // 000000007D04: D1050032 20000D8C
	v_mul_f32_e64 v51, -v141, s6                               // 000000007D0C: D1050033 20000D8D
	v_mul_f32_e64 v52, -v142, s6                               // 000000007D14: D1050034 20000D8E
	v_mul_f32_e64 v53, -v143, s6                               // 000000007D1C: D1050035 20000D8F
	v_exp_f32_e32 v50, v50                                     // 000000007D24: 7E644132
	v_exp_f32_e32 v51, v51                                     // 000000007D28: 7E664133
	v_exp_f32_e32 v52, v52                                     // 000000007D2C: 7E684134
	v_exp_f32_e32 v53, v53                                     // 000000007D30: 7E6A4135
	buffer_load_dwordx4 a[28:31], v42, s[12:15], 0 offen       // 000000007D34: E05C1000 80831C2A
	s_add_u32 s12, s78, s12                                    // 000000007D3C: 800C0C4E
	s_addc_u32 s13, 0, s13                                     // 000000007D40: 820D0D80
	v_add_f32_e64 v50, v50, 1.0                                // 000000007D44: D1010032 0001E532
	v_add_f32_e64 v51, v51, 1.0                                // 000000007D4C: D1010033 0001E533
	v_add_f32_e64 v52, v52, 1.0                                // 000000007D54: D1010034 0001E534
	v_add_f32_e64 v53, v53, 1.0                                // 000000007D5C: D1010035 0001E535
	v_rcp_f32_e32 v50, v50                                     // 000000007D64: 7E644532
	v_rcp_f32_e32 v51, v51                                     // 000000007D68: 7E664533
	v_rcp_f32_e32 v52, v52                                     // 000000007D6C: 7E684534
	v_rcp_f32_e32 v53, v53                                     // 000000007D70: 7E6A4535
	v_mul_f32_e32 v140, v140, v50                              // 000000007D74: 0B18658C
	v_mul_f32_e32 v141, v141, v51                              // 000000007D78: 0B1A678D
	v_mul_f32_e32 v142, v142, v52                              // 000000007D7C: 0B1C698E
	v_mul_f32_e32 v143, v143, v53                              // 000000007D80: 0B1E6B8F
	v_mul_f32_e32 v140, v140, v76                              // 000000007D84: 0B18998C
	v_mul_f32_e32 v141, v141, v77                              // 000000007D88: 0B1A9B8D
	v_mul_f32_e32 v142, v142, v78                              // 000000007D8C: 0B1C9D8E
	v_mul_f32_e32 v143, v143, v79                              // 000000007D90: 0B1E9F8F
	s_waitcnt vmcnt(16)                                        // 000000007D94: BF8C4F70
	buffer_load_dwordx4 a[32:35], v39, s[12:15], 0 offen       // 000000007D98: E05C1000 80832027
	v_mul_f32_e64 v50, -v144, s6                               // 000000007DA0: D1050032 20000D90
	v_mul_f32_e64 v51, -v145, s6                               // 000000007DA8: D1050033 20000D91
	v_mul_f32_e64 v52, -v146, s6                               // 000000007DB0: D1050034 20000D92
	v_mul_f32_e64 v53, -v147, s6                               // 000000007DB8: D1050035 20000D93
	v_exp_f32_e32 v50, v50                                     // 000000007DC0: 7E644132
	v_exp_f32_e32 v51, v51                                     // 000000007DC4: 7E664133
	v_exp_f32_e32 v52, v52                                     // 000000007DC8: 7E684134
	v_exp_f32_e32 v53, v53                                     // 000000007DCC: 7E6A4135
	buffer_load_dwordx4 a[36:39], v40, s[12:15], 0 offen       // 000000007DD0: E05C1000 80832428
	v_add_f32_e64 v50, v50, 1.0                                // 000000007DD8: D1010032 0001E532
	v_add_f32_e64 v51, v51, 1.0                                // 000000007DE0: D1010033 0001E533
	v_add_f32_e64 v52, v52, 1.0                                // 000000007DE8: D1010034 0001E534
	v_add_f32_e64 v53, v53, 1.0                                // 000000007DF0: D1010035 0001E535
	v_rcp_f32_e32 v50, v50                                     // 000000007DF8: 7E644532
	v_rcp_f32_e32 v51, v51                                     // 000000007DFC: 7E664533
	v_rcp_f32_e32 v52, v52                                     // 000000007E00: 7E684534
	v_rcp_f32_e32 v53, v53                                     // 000000007E04: 7E6A4535
	v_mul_f32_e32 v144, v144, v50                              // 000000007E08: 0B206590
	v_mul_f32_e32 v145, v145, v51                              // 000000007E0C: 0B226791
	v_mul_f32_e32 v146, v146, v52                              // 000000007E10: 0B246992
	v_mul_f32_e32 v147, v147, v53                              // 000000007E14: 0B266B93
	v_mul_f32_e32 v144, v144, v80                              // 000000007E18: 0B20A190
	v_mul_f32_e32 v145, v145, v81                              // 000000007E1C: 0B22A391
	v_mul_f32_e32 v146, v146, v82                              // 000000007E20: 0B24A592
	v_mul_f32_e32 v147, v147, v83                              // 000000007E24: 0B26A793
	buffer_load_dwordx4 a[40:43], v41, s[12:15], 0 offen       // 000000007E28: E05C1000 80832829
	v_mul_f32_e64 v50, -v148, s6                               // 000000007E30: D1050032 20000D94
	v_mul_f32_e64 v51, -v149, s6                               // 000000007E38: D1050033 20000D95
	v_mul_f32_e64 v52, -v150, s6                               // 000000007E40: D1050034 20000D96
	v_mul_f32_e64 v53, -v151, s6                               // 000000007E48: D1050035 20000D97
	v_exp_f32_e32 v50, v50                                     // 000000007E50: 7E644132
	v_exp_f32_e32 v51, v51                                     // 000000007E54: 7E664133
	v_exp_f32_e32 v52, v52                                     // 000000007E58: 7E684134
	v_exp_f32_e32 v53, v53                                     // 000000007E5C: 7E6A4135
	buffer_load_dwordx4 a[44:47], v42, s[12:15], 0 offen       // 000000007E60: E05C1000 80832C2A
	s_add_u32 s12, s78, s12                                    // 000000007E68: 800C0C4E
	s_addc_u32 s13, 0, s13                                     // 000000007E6C: 820D0D80
	v_add_f32_e64 v50, v50, 1.0                                // 000000007E70: D1010032 0001E532
	v_add_f32_e64 v51, v51, 1.0                                // 000000007E78: D1010033 0001E533
	v_add_f32_e64 v52, v52, 1.0                                // 000000007E80: D1010034 0001E534
	v_add_f32_e64 v53, v53, 1.0                                // 000000007E88: D1010035 0001E535
	v_rcp_f32_e32 v50, v50                                     // 000000007E90: 7E644532
	v_rcp_f32_e32 v51, v51                                     // 000000007E94: 7E664533
	v_rcp_f32_e32 v52, v52                                     // 000000007E98: 7E684534
	v_rcp_f32_e32 v53, v53                                     // 000000007E9C: 7E6A4535
	v_mul_f32_e32 v148, v148, v50                              // 000000007EA0: 0B286594
	v_mul_f32_e32 v149, v149, v51                              // 000000007EA4: 0B2A6795
	v_mul_f32_e32 v150, v150, v52                              // 000000007EA8: 0B2C6996
	v_mul_f32_e32 v151, v151, v53                              // 000000007EAC: 0B2E6B97
	v_mul_f32_e32 v148, v148, v84                              // 000000007EB0: 0B28A994
	v_mul_f32_e32 v149, v149, v85                              // 000000007EB4: 0B2AAB95
	v_mul_f32_e32 v150, v150, v86                              // 000000007EB8: 0B2CAD96
	v_mul_f32_e32 v151, v151, v87                              // 000000007EBC: 0B2EAF97
	s_waitcnt vmcnt(16)                                        // 000000007EC0: BF8C4F70
	buffer_load_dwordx4 a[48:51], v39, s[12:15], 0 offen       // 000000007EC4: E05C1000 80833027
	v_mul_f32_e64 v50, -v152, s6                               // 000000007ECC: D1050032 20000D98
	v_mul_f32_e64 v51, -v153, s6                               // 000000007ED4: D1050033 20000D99
	v_mul_f32_e64 v52, -v154, s6                               // 000000007EDC: D1050034 20000D9A
	v_mul_f32_e64 v53, -v155, s6                               // 000000007EE4: D1050035 20000D9B
	v_exp_f32_e32 v50, v50                                     // 000000007EEC: 7E644132
	v_exp_f32_e32 v51, v51                                     // 000000007EF0: 7E664133
	v_exp_f32_e32 v52, v52                                     // 000000007EF4: 7E684134
	v_exp_f32_e32 v53, v53                                     // 000000007EF8: 7E6A4135
	buffer_load_dwordx4 a[52:55], v40, s[12:15], 0 offen       // 000000007EFC: E05C1000 80833428
	v_add_f32_e64 v50, v50, 1.0                                // 000000007F04: D1010032 0001E532
	v_add_f32_e64 v51, v51, 1.0                                // 000000007F0C: D1010033 0001E533
	v_add_f32_e64 v52, v52, 1.0                                // 000000007F14: D1010034 0001E534
	v_add_f32_e64 v53, v53, 1.0                                // 000000007F1C: D1010035 0001E535
	v_rcp_f32_e32 v50, v50                                     // 000000007F24: 7E644532
	v_rcp_f32_e32 v51, v51                                     // 000000007F28: 7E664533
	v_rcp_f32_e32 v52, v52                                     // 000000007F2C: 7E684534
	v_rcp_f32_e32 v53, v53                                     // 000000007F30: 7E6A4535
	v_mul_f32_e32 v152, v152, v50                              // 000000007F34: 0B306598
	v_mul_f32_e32 v153, v153, v51                              // 000000007F38: 0B326799
	v_mul_f32_e32 v154, v154, v52                              // 000000007F3C: 0B34699A
	v_mul_f32_e32 v155, v155, v53                              // 000000007F40: 0B366B9B
	v_mul_f32_e32 v152, v152, v88                              // 000000007F44: 0B30B198
	v_mul_f32_e32 v153, v153, v89                              // 000000007F48: 0B32B399
	v_mul_f32_e32 v154, v154, v90                              // 000000007F4C: 0B34B59A
	v_mul_f32_e32 v155, v155, v91                              // 000000007F50: 0B36B79B
	buffer_load_dwordx4 a[56:59], v41, s[12:15], 0 offen       // 000000007F54: E05C1000 80833829
	v_mul_f32_e64 v50, -v156, s6                               // 000000007F5C: D1050032 20000D9C
	v_mul_f32_e64 v51, -v157, s6                               // 000000007F64: D1050033 20000D9D
	v_mul_f32_e64 v52, -v158, s6                               // 000000007F6C: D1050034 20000D9E
	v_mul_f32_e64 v53, -v159, s6                               // 000000007F74: D1050035 20000D9F
	v_exp_f32_e32 v50, v50                                     // 000000007F7C: 7E644132
	v_exp_f32_e32 v51, v51                                     // 000000007F80: 7E664133
	v_exp_f32_e32 v52, v52                                     // 000000007F84: 7E684134
	v_exp_f32_e32 v53, v53                                     // 000000007F88: 7E6A4135
	buffer_load_dwordx4 a[60:63], v42, s[12:15], 0 offen       // 000000007F8C: E05C1000 80833C2A
	s_add_u32 s12, s78, s12                                    // 000000007F94: 800C0C4E
	s_addc_u32 s13, 0, s13                                     // 000000007F98: 820D0D80
	v_add_f32_e64 v50, v50, 1.0                                // 000000007F9C: D1010032 0001E532
	v_add_f32_e64 v51, v51, 1.0                                // 000000007FA4: D1010033 0001E533
	v_add_f32_e64 v52, v52, 1.0                                // 000000007FAC: D1010034 0001E534
	v_add_f32_e64 v53, v53, 1.0                                // 000000007FB4: D1010035 0001E535
	v_rcp_f32_e32 v50, v50                                     // 000000007FBC: 7E644532
	v_rcp_f32_e32 v51, v51                                     // 000000007FC0: 7E664533
	v_rcp_f32_e32 v52, v52                                     // 000000007FC4: 7E684534
	v_rcp_f32_e32 v53, v53                                     // 000000007FC8: 7E6A4535
	v_mul_f32_e32 v156, v156, v50                              // 000000007FCC: 0B38659C
	v_mul_f32_e32 v157, v157, v51                              // 000000007FD0: 0B3A679D
	v_mul_f32_e32 v158, v158, v52                              // 000000007FD4: 0B3C699E
	v_mul_f32_e32 v159, v159, v53                              // 000000007FD8: 0B3E6B9F
	v_mul_f32_e32 v156, v156, v92                              // 000000007FDC: 0B38B99C
	v_mul_f32_e32 v157, v157, v93                              // 000000007FE0: 0B3ABB9D
	v_mul_f32_e32 v158, v158, v94                              // 000000007FE4: 0B3CBD9E
	v_mul_f32_e32 v159, v159, v95                              // 000000007FE8: 0B3EBF9F
	s_waitcnt vmcnt(16)                                        // 000000007FEC: BF8C4F70
	buffer_load_dwordx4 a[64:67], v39, s[12:15], 0 offen       // 000000007FF0: E05C1000 80834027
	v_mul_f32_e64 v50, -v160, s6                               // 000000007FF8: D1050032 20000DA0
	v_mul_f32_e64 v51, -v161, s6                               // 000000008000: D1050033 20000DA1
	v_mul_f32_e64 v52, -v162, s6                               // 000000008008: D1050034 20000DA2
	v_mul_f32_e64 v53, -v163, s6                               // 000000008010: D1050035 20000DA3
	v_exp_f32_e32 v50, v50                                     // 000000008018: 7E644132
	v_exp_f32_e32 v51, v51                                     // 00000000801C: 7E664133
	v_exp_f32_e32 v52, v52                                     // 000000008020: 7E684134
	v_exp_f32_e32 v53, v53                                     // 000000008024: 7E6A4135
	buffer_load_dwordx4 a[68:71], v40, s[12:15], 0 offen       // 000000008028: E05C1000 80834428
	v_add_f32_e64 v50, v50, 1.0                                // 000000008030: D1010032 0001E532
	v_add_f32_e64 v51, v51, 1.0                                // 000000008038: D1010033 0001E533
	v_add_f32_e64 v52, v52, 1.0                                // 000000008040: D1010034 0001E534
	v_add_f32_e64 v53, v53, 1.0                                // 000000008048: D1010035 0001E535
	v_rcp_f32_e32 v50, v50                                     // 000000008050: 7E644532
	v_rcp_f32_e32 v51, v51                                     // 000000008054: 7E664533
	v_rcp_f32_e32 v52, v52                                     // 000000008058: 7E684534
	v_rcp_f32_e32 v53, v53                                     // 00000000805C: 7E6A4535
	v_mul_f32_e32 v160, v160, v50                              // 000000008060: 0B4065A0
	v_mul_f32_e32 v161, v161, v51                              // 000000008064: 0B4267A1
	v_mul_f32_e32 v162, v162, v52                              // 000000008068: 0B4469A2
	v_mul_f32_e32 v163, v163, v53                              // 00000000806C: 0B466BA3
	v_mul_f32_e32 v160, v160, v96                              // 000000008070: 0B40C1A0
	v_mul_f32_e32 v161, v161, v97                              // 000000008074: 0B42C3A1
	v_mul_f32_e32 v162, v162, v98                              // 000000008078: 0B44C5A2
	v_mul_f32_e32 v163, v163, v99                              // 00000000807C: 0B46C7A3
	buffer_load_dwordx4 a[72:75], v41, s[12:15], 0 offen       // 000000008080: E05C1000 80834829
	v_mul_f32_e64 v50, -v164, s6                               // 000000008088: D1050032 20000DA4
	v_mul_f32_e64 v51, -v165, s6                               // 000000008090: D1050033 20000DA5
	v_mul_f32_e64 v52, -v166, s6                               // 000000008098: D1050034 20000DA6
	v_mul_f32_e64 v53, -v167, s6                               // 0000000080A0: D1050035 20000DA7
	v_exp_f32_e32 v50, v50                                     // 0000000080A8: 7E644132
	v_exp_f32_e32 v51, v51                                     // 0000000080AC: 7E664133
	v_exp_f32_e32 v52, v52                                     // 0000000080B0: 7E684134
	v_exp_f32_e32 v53, v53                                     // 0000000080B4: 7E6A4135
	buffer_load_dwordx4 a[76:79], v42, s[12:15], 0 offen       // 0000000080B8: E05C1000 80834C2A
	v_add_f32_e64 v50, v50, 1.0                                // 0000000080C0: D1010032 0001E532
	v_add_f32_e64 v51, v51, 1.0                                // 0000000080C8: D1010033 0001E533
	v_add_f32_e64 v52, v52, 1.0                                // 0000000080D0: D1010034 0001E534
	v_add_f32_e64 v53, v53, 1.0                                // 0000000080D8: D1010035 0001E535
	v_rcp_f32_e32 v50, v50                                     // 0000000080E0: 7E644532
	v_rcp_f32_e32 v51, v51                                     // 0000000080E4: 7E664533
	v_rcp_f32_e32 v52, v52                                     // 0000000080E8: 7E684534
	v_rcp_f32_e32 v53, v53                                     // 0000000080EC: 7E6A4535
	v_mul_f32_e32 v164, v164, v50                              // 0000000080F0: 0B4865A4
	v_mul_f32_e32 v165, v165, v51                              // 0000000080F4: 0B4A67A5
	v_mul_f32_e32 v166, v166, v52                              // 0000000080F8: 0B4C69A6
	v_mul_f32_e32 v167, v167, v53                              // 0000000080FC: 0B4E6BA7
	v_mul_f32_e32 v164, v164, v100                             // 000000008100: 0B48C9A4
	v_mul_f32_e32 v165, v165, v101                             // 000000008104: 0B4ACBA5
	v_mul_f32_e32 v166, v166, v102                             // 000000008108: 0B4CCDA6
	v_mul_f32_e32 v167, v167, v103                             // 00000000810C: 0B4ECFA7
	v_mul_f32_dpp v128, v18, v128 row_newbcast:0 row_mask:0xf bank_mask:0xf// 000000008110: 0B0100FA FF015012
	v_mul_f32_dpp v129, v18, v129 row_newbcast:1 row_mask:0xf bank_mask:0xf// 000000008118: 0B0302FA FF015112
	v_mul_f32_dpp v130, v18, v130 row_newbcast:2 row_mask:0xf bank_mask:0xf// 000000008120: 0B0504FA FF015212
	v_mul_f32_dpp v131, v18, v131 row_newbcast:3 row_mask:0xf bank_mask:0xf// 000000008128: 0B0706FA FF015312
	v_mul_f32_dpp v132, v18, v132 row_newbcast:0 row_mask:0xf bank_mask:0xf// 000000008130: 0B0908FA FF015012
	v_mul_f32_dpp v133, v18, v133 row_newbcast:1 row_mask:0xf bank_mask:0xf// 000000008138: 0B0B0AFA FF015112
	v_mul_f32_dpp v134, v18, v134 row_newbcast:2 row_mask:0xf bank_mask:0xf// 000000008140: 0B0D0CFA FF015212
	v_mul_f32_dpp v135, v18, v135 row_newbcast:3 row_mask:0xf bank_mask:0xf// 000000008148: 0B0F0EFA FF015312
	v_mul_f32_dpp v136, v18, v136 row_newbcast:4 row_mask:0xf bank_mask:0xf// 000000008150: 0B1110FA FF015412
	v_mul_f32_dpp v137, v18, v137 row_newbcast:5 row_mask:0xf bank_mask:0xf// 000000008158: 0B1312FA FF015512
	v_mul_f32_dpp v138, v18, v138 row_newbcast:6 row_mask:0xf bank_mask:0xf// 000000008160: 0B1514FA FF015612
	v_mul_f32_dpp v139, v18, v139 row_newbcast:7 row_mask:0xf bank_mask:0xf// 000000008168: 0B1716FA FF015712
	v_mul_f32_dpp v140, v18, v140 row_newbcast:4 row_mask:0xf bank_mask:0xf// 000000008170: 0B1918FA FF015412
	v_mul_f32_dpp v141, v18, v141 row_newbcast:5 row_mask:0xf bank_mask:0xf// 000000008178: 0B1B1AFA FF015512
	v_mul_f32_dpp v142, v18, v142 row_newbcast:6 row_mask:0xf bank_mask:0xf// 000000008180: 0B1D1CFA FF015612
	v_mul_f32_dpp v143, v18, v143 row_newbcast:7 row_mask:0xf bank_mask:0xf// 000000008188: 0B1F1EFA FF015712
	v_mul_f32_dpp v144, v18, v144 row_newbcast:8 row_mask:0xf bank_mask:0xf// 000000008190: 0B2120FA FF015812
	v_mul_f32_dpp v145, v18, v145 row_newbcast:9 row_mask:0xf bank_mask:0xf// 000000008198: 0B2322FA FF015912
	v_mul_f32_dpp v146, v18, v146 row_newbcast:10 row_mask:0xf bank_mask:0xf// 0000000081A0: 0B2524FA FF015A12
	v_mul_f32_dpp v147, v18, v147 row_newbcast:11 row_mask:0xf bank_mask:0xf// 0000000081A8: 0B2726FA FF015B12
	v_mul_f32_dpp v148, v18, v148 row_newbcast:8 row_mask:0xf bank_mask:0xf// 0000000081B0: 0B2928FA FF015812
	v_mul_f32_dpp v149, v18, v149 row_newbcast:9 row_mask:0xf bank_mask:0xf// 0000000081B8: 0B2B2AFA FF015912
	v_mul_f32_dpp v150, v18, v150 row_newbcast:10 row_mask:0xf bank_mask:0xf// 0000000081C0: 0B2D2CFA FF015A12
	v_mul_f32_dpp v151, v18, v151 row_newbcast:11 row_mask:0xf bank_mask:0xf// 0000000081C8: 0B2F2EFA FF015B12
	v_mul_f32_dpp v152, v18, v152 row_newbcast:12 row_mask:0xf bank_mask:0xf// 0000000081D0: 0B3130FA FF015C12
	v_mul_f32_dpp v153, v18, v153 row_newbcast:13 row_mask:0xf bank_mask:0xf// 0000000081D8: 0B3332FA FF015D12
	v_mul_f32_dpp v154, v18, v154 row_newbcast:14 row_mask:0xf bank_mask:0xf// 0000000081E0: 0B3534FA FF015E12
	v_mul_f32_dpp v155, v18, v155 row_newbcast:15 row_mask:0xf bank_mask:0xf// 0000000081E8: 0B3736FA FF015F12
	v_mul_f32_dpp v156, v18, v156 row_newbcast:12 row_mask:0xf bank_mask:0xf// 0000000081F0: 0B3938FA FF015C12
	v_mul_f32_dpp v157, v18, v157 row_newbcast:13 row_mask:0xf bank_mask:0xf// 0000000081F8: 0B3B3AFA FF015D12
	v_mul_f32_dpp v158, v18, v158 row_newbcast:14 row_mask:0xf bank_mask:0xf// 000000008200: 0B3D3CFA FF015E12
	v_mul_f32_dpp v159, v18, v159 row_newbcast:15 row_mask:0xf bank_mask:0xf// 000000008208: 0B3F3EFA FF015F12
	v_mul_f32_dpp v160, v19, v160 row_newbcast:0 row_mask:0xf bank_mask:0xf// 000000008210: 0B4140FA FF015013
	v_mul_f32_dpp v161, v19, v161 row_newbcast:1 row_mask:0xf bank_mask:0xf// 000000008218: 0B4342FA FF015113
	v_mul_f32_dpp v162, v19, v162 row_newbcast:2 row_mask:0xf bank_mask:0xf// 000000008220: 0B4544FA FF015213
	v_mul_f32_dpp v163, v19, v163 row_newbcast:3 row_mask:0xf bank_mask:0xf// 000000008228: 0B4746FA FF015313
	v_mul_f32_dpp v164, v19, v164 row_newbcast:0 row_mask:0xf bank_mask:0xf// 000000008230: 0B4948FA FF015013
	v_mul_f32_dpp v165, v19, v165 row_newbcast:1 row_mask:0xf bank_mask:0xf// 000000008238: 0B4B4AFA FF015113
	v_mul_f32_dpp v166, v19, v166 row_newbcast:2 row_mask:0xf bank_mask:0xf// 000000008240: 0B4D4CFA FF015213
	v_mul_f32_dpp v167, v19, v167 row_newbcast:3 row_mask:0xf bank_mask:0xf// 000000008248: 0B4F4EFA FF015313
	v_lshlrev_b32_e32 v50, 2, v0                               // 000000008250: 24640082
	s_mul_i32 s60, s82, s71                                    // 000000008254: 923C4752
	v_add_u32_e64 v80, v50, s60                                // 000000008258: D1340050 00007932
	v_mov_b32_e32 v81, 0                                       // 000000008260: 7EA20280
	s_mul_i32 s60, s83, s71                                    // 000000008264: 923C4753
	v_add_u32_e64 v82, v50, s60                                // 000000008268: D1340052 00007932
	v_mov_b32_e32 v83, 0                                       // 000000008270: 7EA60280
	s_mul_i32 s60, s84, s71                                    // 000000008274: 923C4754
	v_add_u32_e64 v84, v50, s60                                // 000000008278: D1340054 00007932
	v_mov_b32_e32 v85, 0                                       // 000000008280: 7EAA0280
	s_mul_i32 s60, s85, s71                                    // 000000008284: 923C4755
	v_add_u32_e64 v86, v50, s60                                // 000000008288: D1340056 00007932
	v_mov_b32_e32 v87, 0                                       // 000000008290: 7EAE0280
	s_mul_i32 s60, s86, s71                                    // 000000008294: 923C4756
	v_add_u32_e64 v88, v50, s60                                // 000000008298: D1340058 00007932
	v_mov_b32_e32 v89, 0                                       // 0000000082A0: 7EB20280
	s_mul_i32 s60, s87, s71                                    // 0000000082A4: 923C4757
	v_add_u32_e64 v90, v50, s60                                // 0000000082A8: D134005A 00007932
	v_mov_b32_e32 v91, 0                                       // 0000000082B0: 7EB60280
	s_mul_i32 s60, s88, s71                                    // 0000000082B4: 923C4758
	v_add_u32_e64 v92, v50, s60                                // 0000000082B8: D134005C 00007932
	v_mov_b32_e32 v93, 0                                       // 0000000082C0: 7EBA0280
	s_mul_i32 s60, s89, s71                                    // 0000000082C4: 923C4759
	v_add_u32_e64 v94, v50, s60                                // 0000000082C8: D134005E 00007932
	v_mov_b32_e32 v95, 0                                       // 0000000082D0: 7EBE0280
	buffer_load_dword v12, v5, s[16:19], 0 offen               // 0000000082D4: E0501000 80040C05
	v_mov_b32_e32 v22, 0x358637bd                              // 0000000082DC: 7E2C02FF 358637BD
	v_mov_b32_e32 v23, 0x358637bd                              // 0000000082E4: 7E2E02FF 358637BD
	v_max3_f32 v22, |v128|, |v129|, v22                        // 0000000082EC: D1D30316 045B0380
	v_max3_f32 v22, |v130|, |v131|, v22                        // 0000000082F4: D1D30316 045B0782
	v_max3_f32 v23, |v132|, |v133|, v23                        // 0000000082FC: D1D30317 045F0B84
	v_max3_f32 v23, |v134|, |v135|, v23                        // 000000008304: D1D30317 045F0F86
	v_max3_f32 v22, |v136|, |v137|, v22                        // 00000000830C: D1D30316 045B1388
	v_max3_f32 v22, |v138|, |v139|, v22                        // 000000008314: D1D30316 045B178A
	v_max3_f32 v23, |v140|, |v141|, v23                        // 00000000831C: D1D30317 045F1B8C
	v_max3_f32 v23, |v142|, |v143|, v23                        // 000000008324: D1D30317 045F1F8E
	v_max3_f32 v22, |v144|, |v145|, v22                        // 00000000832C: D1D30316 045B2390
	v_max3_f32 v22, |v146|, |v147|, v22                        // 000000008334: D1D30316 045B2792
	v_max3_f32 v23, |v148|, |v149|, v23                        // 00000000833C: D1D30317 045F2B94
	v_max3_f32 v23, |v150|, |v151|, v23                        // 000000008344: D1D30317 045F2F96
	v_max3_f32 v22, |v152|, |v153|, v22                        // 00000000834C: D1D30316 045B3398
	v_max3_f32 v22, |v154|, |v155|, v22                        // 000000008354: D1D30316 045B379A
	v_max3_f32 v23, |v156|, |v157|, v23                        // 00000000835C: D1D30317 045F3B9C
	v_max3_f32 v23, |v158|, |v159|, v23                        // 000000008364: D1D30317 045F3F9E
	v_max3_f32 v22, |v160|, |v161|, v22                        // 00000000836C: D1D30316 045B43A0
	v_max3_f32 v22, |v162|, |v163|, v22                        // 000000008374: D1D30316 045B47A2
	v_max3_f32 v23, |v164|, |v165|, v23                        // 00000000837C: D1D30317 045F4BA4
	v_max3_f32 v23, |v166|, |v167|, v23                        // 000000008384: D1D30317 045F4FA6
	v_lshlrev_b32_e32 v50, 3, v0                               // 00000000838C: 24640083
	s_mul_i32 s60, 0x200, s7                                   // 000000008390: 923C07FF 00000200
	v_add_u32_e32 v50, s60, v50                                // 000000008398: 6864643C
	ds_write_b64 v50, v[22:23] offset:16640                    // 00000000839C: D89A4100 00001632
	s_waitcnt lgkmcnt(0)                                       // 0000000083A4: BF8CC07F
	s_barrier                                                  // 0000000083A8: BF8A0000
	v_and_b32_e32 v50, 15, v0                                  // 0000000083AC: 2664008F
	v_lshlrev_b32_e32 v50, 3, v50                              // 0000000083B0: 24646483
	ds_read_b64 v[96:97], v50 offset:16640                     // 0000000083B4: D8EC4100 60000032
	ds_read_b64 v[98:99], v50 offset:16768                     // 0000000083BC: D8EC4180 62000032
	ds_read_b64 v[100:101], v50 offset:16896                   // 0000000083C4: D8EC4200 64000032
	ds_read_b64 v[102:103], v50 offset:17024                   // 0000000083CC: D8EC4280 66000032
	ds_read_b64 v[104:105], v50 offset:17152                   // 0000000083D4: D8EC4300 68000032
	ds_read_b64 v[106:107], v50 offset:17280                   // 0000000083DC: D8EC4380 6A000032
	ds_read_b64 v[108:109], v50 offset:17408                   // 0000000083E4: D8EC4400 6C000032
	ds_read_b64 v[110:111], v50 offset:17536                   // 0000000083EC: D8EC4480 6E000032
	ds_read_b64 v[112:113], v50 offset:17664                   // 0000000083F4: D8EC4500 70000032
	ds_read_b64 v[114:115], v50 offset:17792                   // 0000000083FC: D8EC4580 72000032
	ds_read_b64 v[116:117], v50 offset:17920                   // 000000008404: D8EC4600 74000032
	ds_read_b64 v[118:119], v50 offset:18048                   // 00000000840C: D8EC4680 76000032
	ds_read_b64 v[120:121], v50 offset:18176                   // 000000008414: D8EC4700 78000032
	ds_read_b64 v[122:123], v50 offset:18304                   // 00000000841C: D8EC4780 7A000032
	ds_read_b64 v[124:125], v50 offset:18432                   // 000000008424: D8EC4800 7C000032
	ds_read_b64 v[126:127], v50 offset:18560                   // 00000000842C: D8EC4880 7E000032
	s_waitcnt lgkmcnt(0)                                       // 000000008434: BF8CC07F
	v_max3_f32 v22, |v96|, |v98|, v22                          // 000000008438: D1D30316 045AC560
	v_max3_f32 v23, |v97|, |v99|, v23                          // 000000008440: D1D30317 045EC761
	v_max3_f32 v22, |v100|, |v102|, v22                        // 000000008448: D1D30316 045ACD64
	v_max3_f32 v23, |v101|, |v103|, v23                        // 000000008450: D1D30317 045ECF65
	v_max3_f32 v22, |v104|, |v106|, v22                        // 000000008458: D1D30316 045AD568
	v_max3_f32 v23, |v105|, |v107|, v23                        // 000000008460: D1D30317 045ED769
	v_max3_f32 v22, |v108|, |v110|, v22                        // 000000008468: D1D30316 045ADD6C
	v_max3_f32 v23, |v109|, |v111|, v23                        // 000000008470: D1D30317 045EDF6D
	v_max3_f32 v22, |v112|, |v114|, v22                        // 000000008478: D1D30316 045AE570
	v_max3_f32 v23, |v113|, |v115|, v23                        // 000000008480: D1D30317 045EE771
	v_max3_f32 v22, |v116|, |v118|, v22                        // 000000008488: D1D30316 045AED74
	v_max3_f32 v23, |v117|, |v119|, v23                        // 000000008490: D1D30317 045EEF75
	v_max3_f32 v22, |v120|, |v122|, v22                        // 000000008498: D1D30316 045AF578
	v_max3_f32 v23, |v121|, |v123|, v23                        // 0000000084A0: D1D30317 045EF779
	v_max3_f32 v22, |v124|, |v126|, v22                        // 0000000084A8: D1D30316 045AFD7C
	v_max3_f32 v23, |v125|, |v127|, v23                        // 0000000084B0: D1D30317 045EFF7D
	v_rcp_f32_e32 v22, v22                                     // 0000000084B8: 7E2C4516
	v_rcp_f32_e32 v23, v23                                     // 0000000084BC: 7E2E4517
	v_mov_b32_e32 v50, 0x43e00000                              // 0000000084C0: 7E6402FF 43E00000
	v_mul_f32_e32 v22, v50, v22                                // 0000000084C8: 0A2C2D32
	v_mul_f32_e32 v23, v50, v23                                // 0000000084CC: 0A2E2F32
	v_mul_f32_e32 v128, v22, v128                              // 0000000084D0: 0B010116
	v_mul_f32_e32 v129, v22, v129                              // 0000000084D4: 0B030316
	v_mul_f32_e32 v130, v22, v130                              // 0000000084D8: 0B050516
	v_mul_f32_e32 v131, v22, v131                              // 0000000084DC: 0B070716
	v_cvt_pk_fp8_f32 v128, v128, v129                          // 0000000084E0: D2A20080 00030380
	v_cvt_pk_fp8_f32 v128, v130, v131 op_sel:[0,0,1]           // 0000000084E8: D2A24080 00030782
	v_mul_f32_e32 v132, v23, v132                              // 0000000084F0: 0B090917
	v_mul_f32_e32 v133, v23, v133                              // 0000000084F4: 0B0B0B17
	v_mul_f32_e32 v134, v23, v134                              // 0000000084F8: 0B0D0D17
	v_mul_f32_e32 v135, v23, v135                              // 0000000084FC: 0B0F0F17
	v_cvt_pk_fp8_f32 v129, v132, v133                          // 000000008500: D2A20081 00030B84
	v_cvt_pk_fp8_f32 v129, v134, v135 op_sel:[0,0,1]           // 000000008508: D2A24081 00030F86
	v_mul_f32_e32 v136, v22, v136                              // 000000008510: 0B111116
	v_mul_f32_e32 v137, v22, v137                              // 000000008514: 0B131316
	v_mul_f32_e32 v138, v22, v138                              // 000000008518: 0B151516
	v_mul_f32_e32 v139, v22, v139                              // 00000000851C: 0B171716
	v_cvt_pk_fp8_f32 v130, v136, v137                          // 000000008520: D2A20082 00031388
	v_cvt_pk_fp8_f32 v130, v138, v139 op_sel:[0,0,1]           // 000000008528: D2A24082 0003178A
	v_mul_f32_e32 v140, v23, v140                              // 000000008530: 0B191917
	v_mul_f32_e32 v141, v23, v141                              // 000000008534: 0B1B1B17
	v_mul_f32_e32 v142, v23, v142                              // 000000008538: 0B1D1D17
	v_mul_f32_e32 v143, v23, v143                              // 00000000853C: 0B1F1F17
	v_cvt_pk_fp8_f32 v131, v140, v141                          // 000000008540: D2A20083 00031B8C
	v_cvt_pk_fp8_f32 v131, v142, v143 op_sel:[0,0,1]           // 000000008548: D2A24083 00031F8E
	v_mul_f32_e32 v144, v22, v144                              // 000000008550: 0B212116
	v_mul_f32_e32 v145, v22, v145                              // 000000008554: 0B232316
	v_mul_f32_e32 v146, v22, v146                              // 000000008558: 0B252516
	v_mul_f32_e32 v147, v22, v147                              // 00000000855C: 0B272716
	v_cvt_pk_fp8_f32 v132, v144, v145                          // 000000008560: D2A20084 00032390
	v_cvt_pk_fp8_f32 v132, v146, v147 op_sel:[0,0,1]           // 000000008568: D2A24084 00032792
	v_mul_f32_e32 v148, v23, v148                              // 000000008570: 0B292917
	v_mul_f32_e32 v149, v23, v149                              // 000000008574: 0B2B2B17
	v_mul_f32_e32 v150, v23, v150                              // 000000008578: 0B2D2D17
	v_mul_f32_e32 v151, v23, v151                              // 00000000857C: 0B2F2F17
	v_cvt_pk_fp8_f32 v133, v148, v149                          // 000000008580: D2A20085 00032B94
	v_cvt_pk_fp8_f32 v133, v150, v151 op_sel:[0,0,1]           // 000000008588: D2A24085 00032F96
	v_mul_f32_e32 v152, v22, v152                              // 000000008590: 0B313116
	v_mul_f32_e32 v153, v22, v153                              // 000000008594: 0B333316
	v_mul_f32_e32 v154, v22, v154                              // 000000008598: 0B353516
	v_mul_f32_e32 v155, v22, v155                              // 00000000859C: 0B373716
	v_cvt_pk_fp8_f32 v134, v152, v153                          // 0000000085A0: D2A20086 00033398
	v_cvt_pk_fp8_f32 v134, v154, v155 op_sel:[0,0,1]           // 0000000085A8: D2A24086 0003379A
	v_mul_f32_e32 v156, v23, v156                              // 0000000085B0: 0B393917
	v_mul_f32_e32 v157, v23, v157                              // 0000000085B4: 0B3B3B17
	v_mul_f32_e32 v158, v23, v158                              // 0000000085B8: 0B3D3D17
	v_mul_f32_e32 v159, v23, v159                              // 0000000085BC: 0B3F3F17
	v_cvt_pk_fp8_f32 v135, v156, v157                          // 0000000085C0: D2A20087 00033B9C
	v_cvt_pk_fp8_f32 v135, v158, v159 op_sel:[0,0,1]           // 0000000085C8: D2A24087 00033F9E
	v_mul_f32_e32 v160, v22, v160                              // 0000000085D0: 0B414116
	v_mul_f32_e32 v161, v22, v161                              // 0000000085D4: 0B434316
	v_mul_f32_e32 v162, v22, v162                              // 0000000085D8: 0B454516
	v_mul_f32_e32 v163, v22, v163                              // 0000000085DC: 0B474716
	v_cvt_pk_fp8_f32 v136, v160, v161                          // 0000000085E0: D2A20088 000343A0
	v_cvt_pk_fp8_f32 v136, v162, v163 op_sel:[0,0,1]           // 0000000085E8: D2A24088 000347A2
	v_mul_f32_e32 v164, v23, v164                              // 0000000085F0: 0B494917
	v_mul_f32_e32 v165, v23, v165                              // 0000000085F4: 0B4B4B17
	v_mul_f32_e32 v166, v23, v166                              // 0000000085F8: 0B4D4D17
	v_mul_f32_e32 v167, v23, v167                              // 0000000085FC: 0B4F4F17
	v_cvt_pk_fp8_f32 v137, v164, v165                          // 000000008600: D2A20089 00034BA4
	v_cvt_pk_fp8_f32 v137, v166, v167 op_sel:[0,0,1]           // 000000008608: D2A24089 00034FA6
	v_rcp_f32_e32 v24, v22                                     // 000000008610: 7E304516
	v_rcp_f32_e32 v25, v23                                     // 000000008614: 7E324517
	v_lshrrev_b32_e32 v50, 5, v0                               // 000000008618: 20640085
	v_lshlrev_b32_e32 v51, 5, v50                              // 00000000861C: 24666485
	v_and_b32_e32 v50, 31, v0                                  // 000000008620: 2664009F
	v_lshrrev_b32_e32 v52, 4, v50                              // 000000008624: 20686484
	v_add_u32_e32 v51, v52, v51                                // 000000008628: 68666734
	v_and_b32_e32 v50, 15, v0                                  // 00000000862C: 2664008F
	v_lshlrev_b32_e32 v50, 1, v50                              // 000000008630: 24646481
	v_add_u32_e32 v51, v50, v51                                // 000000008634: 68666732
	v_lshlrev_b32_e32 v50, 2, v51                              // 000000008638: 24646682
	s_mul_i32 s60, 0x100, s7                                   // 00000000863C: 923C07FF 00000100
	v_add_u32_e64 v50, v50, s60                                // 000000008644: D1340032 00007932
	ds_write_b32 v50, v128 offset:18688                        // 00000000864C: D81A4900 00008032
	ds_write_b32 v50, v129 offset:23808                        // 000000008654: D81A5D00 00008132
	ds_write_b32 v50, v130 offset:19712                        // 00000000865C: D81A4D00 00008232
	ds_write_b32 v50, v131 offset:24832                        // 000000008664: D81A6100 00008332
	ds_write_b32 v50, v132 offset:20736                        // 00000000866C: D81A5100 00008432
	ds_write_b32 v50, v133 offset:25856                        // 000000008674: D81A6500 00008532
	ds_write_b32 v50, v134 offset:21760                        // 00000000867C: D81A5500 00008632
	ds_write_b32 v50, v135 offset:26880                        // 000000008684: D81A6900 00008732
	ds_write_b32 v50, v136 offset:22784                        // 00000000868C: D81A5900 00008832
	ds_write_b32 v50, v137 offset:27904                        // 000000008694: D81A6D00 00008932
	s_waitcnt lgkmcnt(0)                                       // 00000000869C: BF8CC07F
	s_barrier                                                  // 0000000086A0: BF8A0000
	v_lshrrev_b32_e32 v50, 4, v0                               // 0000000086A4: 20640084
	v_lshlrev_b32_e32 v51, 6, v50                              // 0000000086A8: 24666486
	v_and_b32_e32 v50, 15, v0                                  // 0000000086AC: 2664008F
	v_lshlrev_b32_e32 v50, 1, v50                              // 0000000086B0: 24646481
	v_add_u32_e32 v51, v50, v51                                // 0000000086B4: 68666732
	v_lshlrev_b32_e32 v50, 2, v51                              // 0000000086B8: 24646682
	ds_read_b64 v[128:129], v50 offset:18688                   // 0000000086BC: D8EC4900 80000032
	ds_read_b64 v[130:131], v50 offset:18816                   // 0000000086C4: D8EC4980 82000032
	ds_read_b64 v[132:133], v50 offset:19712                   // 0000000086CC: D8EC4D00 84000032
	ds_read_b64 v[134:135], v50 offset:19840                   // 0000000086D4: D8EC4D80 86000032
	ds_read_b64 v[136:137], v50 offset:20736                   // 0000000086DC: D8EC5100 88000032
	ds_read_b64 v[138:139], v50 offset:20864                   // 0000000086E4: D8EC5180 8A000032
	ds_read_b64 v[140:141], v50 offset:21760                   // 0000000086EC: D8EC5500 8C000032
	ds_read_b64 v[142:143], v50 offset:21888                   // 0000000086F4: D8EC5580 8E000032
	ds_read_b64 v[144:145], v50 offset:22784                   // 0000000086FC: D8EC5900 90000032
	ds_read_b64 v[146:147], v50 offset:22912                   // 000000008704: D8EC5980 92000032
	ds_read_b64 v[148:149], v50 offset:23808                   // 00000000870C: D8EC5D00 94000032
	ds_read_b64 v[150:151], v50 offset:23936                   // 000000008714: D8EC5D80 96000032
	ds_read_b64 v[152:153], v50 offset:24832                   // 00000000871C: D8EC6100 98000032
	ds_read_b64 v[154:155], v50 offset:24960                   // 000000008724: D8EC6180 9A000032
	ds_read_b64 v[156:157], v50 offset:25856                   // 00000000872C: D8EC6500 9C000032
	ds_read_b64 v[158:159], v50 offset:25984                   // 000000008734: D8EC6580 9E000032
	ds_read_b64 v[160:161], v50 offset:26880                   // 00000000873C: D8EC6900 A0000032
	ds_read_b64 v[162:163], v50 offset:27008                   // 000000008744: D8EC6980 A2000032
	ds_read_b64 v[164:165], v50 offset:27904                   // 00000000874C: D8EC6D00 A4000032
	ds_read_b64 v[166:167], v50 offset:28032                   // 000000008754: D8EC6D80 A6000032
	s_add_u32 s12, s56, s12                                    // 00000000875C: 800C0C38
	s_addc_u32 s13, 0, s13                                     // 000000008760: 820D0D80
	s_add_u32 s16, s79, s16                                    // 000000008764: 8010104F
	s_addc_u32 s17, 0, s17                                     // 000000008768: 82111180
	s_mov_b32 s80, 0                                           // 00000000876C: BED00080
	s_waitcnt vmcnt(0) expcnt(0) lgkmcnt(0)                    // 000000008770: BF8C0000

0000000000008774 <label_165D>:
	s_waitcnt vmcnt(33)                                        // 000000008774: BF8C8F71
	s_barrier                                                  // 000000008778: BF8A0000
	v_mfma_f32_16x16x32_fp8_fp8 v[168:171], a[0:1], v[128:129], 0// 00000000877C: D3F300A8 0A030100
	buffer_load_dwordx4 a[80:83], v39, s[12:15], 0 offen       // 000000008784: E05C1000 80835027
	v_mfma_f32_16x16x32_fp8_fp8 v[168:171], a[2:3], v[130:131], v[168:171]// 00000000878C: D3F300A8 0EA30502
	v_mfma_f32_16x16x32_fp8_fp8 v[172:175], a[0:1], v[148:149], 0// 000000008794: D3F300AC 0A032900
	v_mfma_f32_16x16x32_fp8_fp8 v[172:175], a[2:3], v[150:151], v[172:175]// 00000000879C: D3F300AC 0EB32D02
	v_mfma_f32_16x16x32_fp8_fp8 v[176:179], a[4:5], v[128:129], 0// 0000000087A4: D3F300B0 0A030104
	buffer_load_dwordx4 a[84:87], v40, s[12:15], 0 offen       // 0000000087AC: E05C1000 80835428
	v_mfma_f32_16x16x32_fp8_fp8 v[176:179], a[6:7], v[130:131], v[176:179]// 0000000087B4: D3F300B0 0EC30506
	v_mfma_f32_16x16x32_fp8_fp8 v[180:183], a[4:5], v[148:149], 0// 0000000087BC: D3F300B4 0A032904
	v_mfma_f32_16x16x32_fp8_fp8 v[180:183], a[6:7], v[150:151], v[180:183]// 0000000087C4: D3F300B4 0ED32D06
	v_mfma_f32_16x16x32_fp8_fp8 v[184:187], a[8:9], v[128:129], 0// 0000000087CC: D3F300B8 0A030108
	buffer_load_dwordx4 a[88:91], v41, s[12:15], 0 offen       // 0000000087D4: E05C1000 80835829
	v_mfma_f32_16x16x32_fp8_fp8 v[184:187], a[10:11], v[130:131], v[184:187]// 0000000087DC: D3F300B8 0EE3050A
	v_mfma_f32_16x16x32_fp8_fp8 v[188:191], a[8:9], v[148:149], 0// 0000000087E4: D3F300BC 0A032908
	v_mfma_f32_16x16x32_fp8_fp8 v[188:191], a[10:11], v[150:151], v[188:191]// 0000000087EC: D3F300BC 0EF32D0A
	v_mfma_f32_16x16x32_fp8_fp8 v[192:195], a[12:13], v[128:129], 0// 0000000087F4: D3F300C0 0A03010C
	buffer_load_dwordx4 a[92:95], v42, s[12:15], 0 offen       // 0000000087FC: E05C1000 80835C2A
	s_add_u32 s12, s78, s12                                    // 000000008804: 800C0C4E
	s_addc_u32 s13, 0, s13                                     // 000000008808: 820D0D80
	v_mfma_f32_16x16x32_fp8_fp8 v[192:195], a[14:15], v[130:131], v[192:195]// 00000000880C: D3F300C0 0F03050E
	v_mfma_f32_16x16x32_fp8_fp8 v[196:199], a[12:13], v[148:149], 0// 000000008814: D3F300C4 0A03290C
	v_mfma_f32_16x16x32_fp8_fp8 v[196:199], a[14:15], v[150:151], v[196:199]// 00000000881C: D3F300C4 0F132D0E
	s_waitcnt vmcnt(33)                                        // 000000008824: BF8C8F71
	v_mfma_f32_16x16x32_fp8_fp8 v[168:171], a[16:17], v[132:133], v[168:171]// 000000008828: D3F300A8 0EA30910
	buffer_load_dwordx4 a[96:99], v39, s[12:15], 0 offen       // 000000008830: E05C1000 80836027
	v_mfma_f32_16x16x32_fp8_fp8 v[168:171], a[18:19], v[134:135], v[168:171]// 000000008838: D3F300A8 0EA30D12
	v_mfma_f32_16x16x32_fp8_fp8 v[172:175], a[16:17], v[152:153], v[172:175]// 000000008840: D3F300AC 0EB33110
	v_mfma_f32_16x16x32_fp8_fp8 v[172:175], a[18:19], v[154:155], v[172:175]// 000000008848: D3F300AC 0EB33512
	v_mfma_f32_16x16x32_fp8_fp8 v[176:179], a[20:21], v[132:133], v[176:179]// 000000008850: D3F300B0 0EC30914
	buffer_load_dwordx4 a[100:103], v40, s[12:15], 0 offen     // 000000008858: E05C1000 80836428
	v_mfma_f32_16x16x32_fp8_fp8 v[176:179], a[22:23], v[134:135], v[176:179]// 000000008860: D3F300B0 0EC30D16
	v_mfma_f32_16x16x32_fp8_fp8 v[180:183], a[20:21], v[152:153], v[180:183]// 000000008868: D3F300B4 0ED33114
	v_mfma_f32_16x16x32_fp8_fp8 v[180:183], a[22:23], v[154:155], v[180:183]// 000000008870: D3F300B4 0ED33516
	v_mfma_f32_16x16x32_fp8_fp8 v[184:187], a[24:25], v[132:133], v[184:187]// 000000008878: D3F300B8 0EE30918
	buffer_load_dwordx4 a[104:107], v41, s[12:15], 0 offen     // 000000008880: E05C1000 80836829
	v_mfma_f32_16x16x32_fp8_fp8 v[184:187], a[26:27], v[134:135], v[184:187]// 000000008888: D3F300B8 0EE30D1A
	v_mfma_f32_16x16x32_fp8_fp8 v[188:191], a[24:25], v[152:153], v[188:191]// 000000008890: D3F300BC 0EF33118
	v_mfma_f32_16x16x32_fp8_fp8 v[188:191], a[26:27], v[154:155], v[188:191]// 000000008898: D3F300BC 0EF3351A
	v_mfma_f32_16x16x32_fp8_fp8 v[192:195], a[28:29], v[132:133], v[192:195]// 0000000088A0: D3F300C0 0F03091C
	buffer_load_dwordx4 a[108:111], v42, s[12:15], 0 offen     // 0000000088A8: E05C1000 80836C2A
	s_add_u32 s12, s78, s12                                    // 0000000088B0: 800C0C4E
	s_addc_u32 s13, 0, s13                                     // 0000000088B4: 820D0D80
	v_mfma_f32_16x16x32_fp8_fp8 v[192:195], a[30:31], v[134:135], v[192:195]// 0000000088B8: D3F300C0 0F030D1E
	v_mfma_f32_16x16x32_fp8_fp8 v[196:199], a[28:29], v[152:153], v[196:199]// 0000000088C0: D3F300C4 0F13311C
	v_mfma_f32_16x16x32_fp8_fp8 v[196:199], a[30:31], v[154:155], v[196:199]// 0000000088C8: D3F300C4 0F13351E
	s_waitcnt vmcnt(33)                                        // 0000000088D0: BF8C8F71
	v_mfma_f32_16x16x32_fp8_fp8 v[168:171], a[32:33], v[136:137], v[168:171]// 0000000088D4: D3F300A8 0EA31120
	buffer_load_dwordx4 a[112:115], v39, s[12:15], 0 offen     // 0000000088DC: E05C1000 80837027
	v_mfma_f32_16x16x32_fp8_fp8 v[168:171], a[34:35], v[138:139], v[168:171]// 0000000088E4: D3F300A8 0EA31522
	v_mfma_f32_16x16x32_fp8_fp8 v[172:175], a[32:33], v[156:157], v[172:175]// 0000000088EC: D3F300AC 0EB33920
	v_mfma_f32_16x16x32_fp8_fp8 v[172:175], a[34:35], v[158:159], v[172:175]// 0000000088F4: D3F300AC 0EB33D22
	v_mfma_f32_16x16x32_fp8_fp8 v[176:179], a[36:37], v[136:137], v[176:179]// 0000000088FC: D3F300B0 0EC31124
	buffer_load_dwordx4 a[116:119], v40, s[12:15], 0 offen     // 000000008904: E05C1000 80837428
	v_mfma_f32_16x16x32_fp8_fp8 v[176:179], a[38:39], v[138:139], v[176:179]// 00000000890C: D3F300B0 0EC31526
	v_mfma_f32_16x16x32_fp8_fp8 v[180:183], a[36:37], v[156:157], v[180:183]// 000000008914: D3F300B4 0ED33924
	v_mfma_f32_16x16x32_fp8_fp8 v[180:183], a[38:39], v[158:159], v[180:183]// 00000000891C: D3F300B4 0ED33D26
	v_mfma_f32_16x16x32_fp8_fp8 v[184:187], a[40:41], v[136:137], v[184:187]// 000000008924: D3F300B8 0EE31128
	buffer_load_dwordx4 a[120:123], v41, s[12:15], 0 offen     // 00000000892C: E05C1000 80837829
	v_mfma_f32_16x16x32_fp8_fp8 v[184:187], a[42:43], v[138:139], v[184:187]// 000000008934: D3F300B8 0EE3152A
	v_mfma_f32_16x16x32_fp8_fp8 v[188:191], a[40:41], v[156:157], v[188:191]// 00000000893C: D3F300BC 0EF33928
	v_mfma_f32_16x16x32_fp8_fp8 v[188:191], a[42:43], v[158:159], v[188:191]// 000000008944: D3F300BC 0EF33D2A
	v_mfma_f32_16x16x32_fp8_fp8 v[192:195], a[44:45], v[136:137], v[192:195]// 00000000894C: D3F300C0 0F03112C
	buffer_load_dwordx4 a[124:127], v42, s[12:15], 0 offen     // 000000008954: E05C1000 80837C2A
	s_add_u32 s12, s78, s12                                    // 00000000895C: 800C0C4E
	s_addc_u32 s13, 0, s13                                     // 000000008960: 820D0D80
	v_mfma_f32_16x16x32_fp8_fp8 v[192:195], a[46:47], v[138:139], v[192:195]// 000000008964: D3F300C0 0F03152E
	v_mfma_f32_16x16x32_fp8_fp8 v[196:199], a[44:45], v[156:157], v[196:199]// 00000000896C: D3F300C4 0F13392C
	v_mfma_f32_16x16x32_fp8_fp8 v[196:199], a[46:47], v[158:159], v[196:199]// 000000008974: D3F300C4 0F133D2E
	s_waitcnt vmcnt(33)                                        // 00000000897C: BF8C8F71
	v_mfma_f32_16x16x32_fp8_fp8 v[168:171], a[48:49], v[140:141], v[168:171]// 000000008980: D3F300A8 0EA31930
	buffer_load_dwordx4 a[128:131], v39, s[12:15], 0 offen     // 000000008988: E05C1000 80838027
	v_mfma_f32_16x16x32_fp8_fp8 v[168:171], a[50:51], v[142:143], v[168:171]// 000000008990: D3F300A8 0EA31D32
	v_mfma_f32_16x16x32_fp8_fp8 v[172:175], a[48:49], v[160:161], v[172:175]// 000000008998: D3F300AC 0EB34130
	v_mfma_f32_16x16x32_fp8_fp8 v[172:175], a[50:51], v[162:163], v[172:175]// 0000000089A0: D3F300AC 0EB34532
	v_mfma_f32_16x16x32_fp8_fp8 v[176:179], a[52:53], v[140:141], v[176:179]// 0000000089A8: D3F300B0 0EC31934
	buffer_load_dwordx4 a[132:135], v40, s[12:15], 0 offen     // 0000000089B0: E05C1000 80838428
	v_mfma_f32_16x16x32_fp8_fp8 v[176:179], a[54:55], v[142:143], v[176:179]// 0000000089B8: D3F300B0 0EC31D36
	v_mfma_f32_16x16x32_fp8_fp8 v[180:183], a[52:53], v[160:161], v[180:183]// 0000000089C0: D3F300B4 0ED34134
	v_mfma_f32_16x16x32_fp8_fp8 v[180:183], a[54:55], v[162:163], v[180:183]// 0000000089C8: D3F300B4 0ED34536
	v_mfma_f32_16x16x32_fp8_fp8 v[184:187], a[56:57], v[140:141], v[184:187]// 0000000089D0: D3F300B8 0EE31938
	buffer_load_dwordx4 a[136:139], v41, s[12:15], 0 offen     // 0000000089D8: E05C1000 80838829
	v_mfma_f32_16x16x32_fp8_fp8 v[184:187], a[58:59], v[142:143], v[184:187]// 0000000089E0: D3F300B8 0EE31D3A
	v_mfma_f32_16x16x32_fp8_fp8 v[188:191], a[56:57], v[160:161], v[188:191]// 0000000089E8: D3F300BC 0EF34138
	v_mfma_f32_16x16x32_fp8_fp8 v[188:191], a[58:59], v[162:163], v[188:191]// 0000000089F0: D3F300BC 0EF3453A
	v_mfma_f32_16x16x32_fp8_fp8 v[192:195], a[60:61], v[140:141], v[192:195]// 0000000089F8: D3F300C0 0F03193C
	buffer_load_dwordx4 a[140:143], v42, s[12:15], 0 offen     // 000000008A00: E05C1000 80838C2A
	s_add_u32 s12, s78, s12                                    // 000000008A08: 800C0C4E
	s_addc_u32 s13, 0, s13                                     // 000000008A0C: 820D0D80
	v_mfma_f32_16x16x32_fp8_fp8 v[192:195], a[62:63], v[142:143], v[192:195]// 000000008A10: D3F300C0 0F031D3E
	v_mfma_f32_16x16x32_fp8_fp8 v[196:199], a[60:61], v[160:161], v[196:199]// 000000008A18: D3F300C4 0F13413C
	v_mfma_f32_16x16x32_fp8_fp8 v[196:199], a[62:63], v[162:163], v[196:199]// 000000008A20: D3F300C4 0F13453E
	s_waitcnt vmcnt(32)                                        // 000000008A28: BF8C8F70
	v_mfma_f32_16x16x32_fp8_fp8 v[168:171], a[64:65], v[144:145], v[168:171]// 000000008A2C: D3F300A8 0EA32140
	buffer_load_dwordx4 a[144:147], v39, s[12:15], 0 offen     // 000000008A34: E05C1000 80839027
	v_mfma_f32_16x16x32_fp8_fp8 v[168:171], a[66:67], v[146:147], v[168:171]// 000000008A3C: D3F300A8 0EA32542
	v_mfma_f32_16x16x32_fp8_fp8 v[172:175], a[64:65], v[164:165], v[172:175]// 000000008A44: D3F300AC 0EB34940
	buffer_load_dword v13, v5, s[16:19], 0 offen               // 000000008A4C: E0501000 80040D05
	v_mfma_f32_16x16x32_fp8_fp8 v[172:175], a[66:67], v[166:167], v[172:175]// 000000008A54: D3F300AC 0EB34D42
	v_mfma_f32_16x16x32_fp8_fp8 v[176:179], a[68:69], v[144:145], v[176:179]// 000000008A5C: D3F300B0 0EC32144
	buffer_load_dwordx4 a[148:151], v40, s[12:15], 0 offen     // 000000008A64: E05C1000 80839428
	v_mfma_f32_16x16x32_fp8_fp8 v[176:179], a[70:71], v[146:147], v[176:179]// 000000008A6C: D3F300B0 0EC32546
	v_mfma_f32_16x16x32_fp8_fp8 v[180:183], a[68:69], v[164:165], v[180:183]// 000000008A74: D3F300B4 0ED34944
	v_mfma_f32_16x16x32_fp8_fp8 v[180:183], a[70:71], v[166:167], v[180:183]// 000000008A7C: D3F300B4 0ED34D46
	v_mfma_f32_16x16x32_fp8_fp8 v[184:187], a[72:73], v[144:145], v[184:187]// 000000008A84: D3F300B8 0EE32148
	buffer_load_dwordx4 a[152:155], v41, s[12:15], 0 offen     // 000000008A8C: E05C1000 80839829
	v_mfma_f32_16x16x32_fp8_fp8 v[184:187], a[74:75], v[146:147], v[184:187]// 000000008A94: D3F300B8 0EE3254A
	v_mfma_f32_16x16x32_fp8_fp8 v[188:191], a[72:73], v[164:165], v[188:191]// 000000008A9C: D3F300BC 0EF34948
	v_mfma_f32_16x16x32_fp8_fp8 v[188:191], a[74:75], v[166:167], v[188:191]// 000000008AA4: D3F300BC 0EF34D4A
	v_mfma_f32_16x16x32_fp8_fp8 v[192:195], a[76:77], v[144:145], v[192:195]// 000000008AAC: D3F300C0 0F03214C
	buffer_load_dwordx4 a[156:159], v42, s[12:15], 0 offen     // 000000008AB4: E05C1000 80839C2A
	v_mfma_f32_16x16x32_fp8_fp8 v[192:195], a[78:79], v[146:147], v[192:195]// 000000008ABC: D3F300C0 0F03254E
	v_mfma_f32_16x16x32_fp8_fp8 v[196:199], a[76:77], v[164:165], v[196:199]// 000000008AC4: D3F300C4 0F13494C
	v_mfma_f32_16x16x32_fp8_fp8 v[196:199], a[78:79], v[166:167], v[196:199]// 000000008ACC: D3F300C4 0F134D4E
	s_add_u32 s60, 0x200, s80                                  // 000000008AD4: 803C50FF 00000200
	s_cmp_lt_u32 s60, s81                                      // 000000008ADC: BF0A513C
	s_cselect_b32 s56, s56, 0                                  // 000000008AE0: 85388038
	s_cselect_b32 s78, s78, 0                                  // 000000008AE4: 854E804E
	s_cselect_b32 s79, s79, 0                                  // 000000008AE8: 854F804F
	s_add_u32 s12, s56, s12                                    // 000000008AEC: 800C0C38
	s_addc_u32 s13, 0, s13                                     // 000000008AF0: 820D0D80
	s_add_u32 s16, s79, s16                                    // 000000008AF4: 8010104F
	s_addc_u32 s17, 0, s17                                     // 000000008AF8: 82111180
	v_mul_f32_e32 v168, v24, v168                              // 000000008AFC: 0B515118
	v_mul_f32_e32 v169, v24, v169                              // 000000008B00: 0B535318
	v_mul_f32_e32 v170, v24, v170                              // 000000008B04: 0B555518
	v_mul_f32_e32 v171, v24, v171                              // 000000008B08: 0B575718
	v_mul_f32_dpp v168, v12, v168 row_newbcast:0 row_mask:0xf bank_mask:0xf// 000000008B0C: 0B5150FA FF01500C
	v_mul_f32_dpp v169, v12, v169 row_newbcast:1 row_mask:0xf bank_mask:0xf// 000000008B14: 0B5352FA FF01510C
	v_mul_f32_dpp v170, v12, v170 row_newbcast:2 row_mask:0xf bank_mask:0xf// 000000008B1C: 0B5554FA FF01520C
	v_mul_f32_dpp v171, v12, v171 row_newbcast:3 row_mask:0xf bank_mask:0xf// 000000008B24: 0B5756FA FF01530C
	v_mul_f32_e32 v168, v20, v168                              // 000000008B2C: 0B515114
	v_mul_f32_e32 v169, v20, v169                              // 000000008B30: 0B535314
	v_mul_f32_e32 v170, v20, v170                              // 000000008B34: 0B555514
	v_mul_f32_e32 v171, v20, v171                              // 000000008B38: 0B575714
	v_mul_f32_e32 v172, v25, v172                              // 000000008B3C: 0B595919
	v_mul_f32_e32 v173, v25, v173                              // 000000008B40: 0B5B5B19
	v_mul_f32_e32 v174, v25, v174                              // 000000008B44: 0B5D5D19
	v_mul_f32_e32 v175, v25, v175                              // 000000008B48: 0B5F5F19
	v_mul_f32_dpp v172, v12, v172 row_newbcast:0 row_mask:0xf bank_mask:0xf// 000000008B4C: 0B5958FA FF01500C
	v_mul_f32_dpp v173, v12, v173 row_newbcast:1 row_mask:0xf bank_mask:0xf// 000000008B54: 0B5B5AFA FF01510C
	v_mul_f32_dpp v174, v12, v174 row_newbcast:2 row_mask:0xf bank_mask:0xf// 000000008B5C: 0B5D5CFA FF01520C
	v_mul_f32_dpp v175, v12, v175 row_newbcast:3 row_mask:0xf bank_mask:0xf// 000000008B64: 0B5F5EFA FF01530C
	v_mul_f32_e32 v172, v21, v172                              // 000000008B6C: 0B595915
	v_mul_f32_e32 v173, v21, v173                              // 000000008B70: 0B5B5B15
	v_mul_f32_e32 v174, v21, v174                              // 000000008B74: 0B5D5D15
	v_mul_f32_e32 v175, v21, v175                              // 000000008B78: 0B5F5F15
	v_mul_f32_e32 v176, v24, v176                              // 000000008B7C: 0B616118
	v_mul_f32_e32 v177, v24, v177                              // 000000008B80: 0B636318
	v_mul_f32_e32 v178, v24, v178                              // 000000008B84: 0B656518
	v_mul_f32_e32 v179, v24, v179                              // 000000008B88: 0B676718
	v_mul_f32_dpp v176, v12, v176 row_newbcast:4 row_mask:0xf bank_mask:0xf// 000000008B8C: 0B6160FA FF01540C
	v_mul_f32_dpp v177, v12, v177 row_newbcast:5 row_mask:0xf bank_mask:0xf// 000000008B94: 0B6362FA FF01550C
	v_mul_f32_dpp v178, v12, v178 row_newbcast:6 row_mask:0xf bank_mask:0xf// 000000008B9C: 0B6564FA FF01560C
	v_mul_f32_dpp v179, v12, v179 row_newbcast:7 row_mask:0xf bank_mask:0xf// 000000008BA4: 0B6766FA FF01570C
	v_mul_f32_e32 v176, v20, v176                              // 000000008BAC: 0B616114
	v_mul_f32_e32 v177, v20, v177                              // 000000008BB0: 0B636314
	v_mul_f32_e32 v178, v20, v178                              // 000000008BB4: 0B656514
	v_mul_f32_e32 v179, v20, v179                              // 000000008BB8: 0B676714
	v_mul_f32_e32 v180, v25, v180                              // 000000008BBC: 0B696919
	v_mul_f32_e32 v181, v25, v181                              // 000000008BC0: 0B6B6B19
	v_mul_f32_e32 v182, v25, v182                              // 000000008BC4: 0B6D6D19
	v_mul_f32_e32 v183, v25, v183                              // 000000008BC8: 0B6F6F19
	v_mul_f32_dpp v180, v12, v180 row_newbcast:4 row_mask:0xf bank_mask:0xf// 000000008BCC: 0B6968FA FF01540C
	v_mul_f32_dpp v181, v12, v181 row_newbcast:5 row_mask:0xf bank_mask:0xf// 000000008BD4: 0B6B6AFA FF01550C
	v_mul_f32_dpp v182, v12, v182 row_newbcast:6 row_mask:0xf bank_mask:0xf// 000000008BDC: 0B6D6CFA FF01560C
	v_mul_f32_dpp v183, v12, v183 row_newbcast:7 row_mask:0xf bank_mask:0xf// 000000008BE4: 0B6F6EFA FF01570C
	v_mul_f32_e32 v180, v21, v180                              // 000000008BEC: 0B696915
	v_mul_f32_e32 v181, v21, v181                              // 000000008BF0: 0B6B6B15
	v_mul_f32_e32 v182, v21, v182                              // 000000008BF4: 0B6D6D15
	v_mul_f32_e32 v183, v21, v183                              // 000000008BF8: 0B6F6F15
	v_mul_f32_e32 v184, v24, v184                              // 000000008BFC: 0B717118
	v_mul_f32_e32 v185, v24, v185                              // 000000008C00: 0B737318
	v_mul_f32_e32 v186, v24, v186                              // 000000008C04: 0B757518
	v_mul_f32_e32 v187, v24, v187                              // 000000008C08: 0B777718
	v_mul_f32_dpp v184, v12, v184 row_newbcast:8 row_mask:0xf bank_mask:0xf// 000000008C0C: 0B7170FA FF01580C
	v_mul_f32_dpp v185, v12, v185 row_newbcast:9 row_mask:0xf bank_mask:0xf// 000000008C14: 0B7372FA FF01590C
	v_mul_f32_dpp v186, v12, v186 row_newbcast:10 row_mask:0xf bank_mask:0xf// 000000008C1C: 0B7574FA FF015A0C
	v_mul_f32_dpp v187, v12, v187 row_newbcast:11 row_mask:0xf bank_mask:0xf// 000000008C24: 0B7776FA FF015B0C
	v_mul_f32_e32 v184, v20, v184                              // 000000008C2C: 0B717114
	v_mul_f32_e32 v185, v20, v185                              // 000000008C30: 0B737314
	v_mul_f32_e32 v186, v20, v186                              // 000000008C34: 0B757514
	v_mul_f32_e32 v187, v20, v187                              // 000000008C38: 0B777714
	v_mul_f32_e32 v188, v25, v188                              // 000000008C3C: 0B797919
	v_mul_f32_e32 v189, v25, v189                              // 000000008C40: 0B7B7B19
	v_mul_f32_e32 v190, v25, v190                              // 000000008C44: 0B7D7D19
	v_mul_f32_e32 v191, v25, v191                              // 000000008C48: 0B7F7F19
	v_mul_f32_dpp v188, v12, v188 row_newbcast:8 row_mask:0xf bank_mask:0xf// 000000008C4C: 0B7978FA FF01580C
	v_mul_f32_dpp v189, v12, v189 row_newbcast:9 row_mask:0xf bank_mask:0xf// 000000008C54: 0B7B7AFA FF01590C
	v_mul_f32_dpp v190, v12, v190 row_newbcast:10 row_mask:0xf bank_mask:0xf// 000000008C5C: 0B7D7CFA FF015A0C
	v_mul_f32_dpp v191, v12, v191 row_newbcast:11 row_mask:0xf bank_mask:0xf// 000000008C64: 0B7F7EFA FF015B0C
	v_mul_f32_e32 v188, v21, v188                              // 000000008C6C: 0B797915
	v_mul_f32_e32 v189, v21, v189                              // 000000008C70: 0B7B7B15
	v_mul_f32_e32 v190, v21, v190                              // 000000008C74: 0B7D7D15
	v_mul_f32_e32 v191, v21, v191                              // 000000008C78: 0B7F7F15
	v_mul_f32_e32 v192, v24, v192                              // 000000008C7C: 0B818118
	v_mul_f32_e32 v193, v24, v193                              // 000000008C80: 0B838318
	v_mul_f32_e32 v194, v24, v194                              // 000000008C84: 0B858518
	v_mul_f32_e32 v195, v24, v195                              // 000000008C88: 0B878718
	v_mul_f32_dpp v192, v12, v192 row_newbcast:12 row_mask:0xf bank_mask:0xf// 000000008C8C: 0B8180FA FF015C0C
	v_mul_f32_dpp v193, v12, v193 row_newbcast:13 row_mask:0xf bank_mask:0xf// 000000008C94: 0B8382FA FF015D0C
	v_mul_f32_dpp v194, v12, v194 row_newbcast:14 row_mask:0xf bank_mask:0xf// 000000008C9C: 0B8584FA FF015E0C
	v_mul_f32_dpp v195, v12, v195 row_newbcast:15 row_mask:0xf bank_mask:0xf// 000000008CA4: 0B8786FA FF015F0C
	v_mul_f32_e32 v192, v20, v192                              // 000000008CAC: 0B818114
	v_mul_f32_e32 v193, v20, v193                              // 000000008CB0: 0B838314
	v_mul_f32_e32 v194, v20, v194                              // 000000008CB4: 0B858514
	v_mul_f32_e32 v195, v20, v195                              // 000000008CB8: 0B878714
	v_mul_f32_e32 v196, v25, v196                              // 000000008CBC: 0B898919
	v_mul_f32_e32 v197, v25, v197                              // 000000008CC0: 0B8B8B19
	v_mul_f32_e32 v198, v25, v198                              // 000000008CC4: 0B8D8D19
	v_mul_f32_e32 v199, v25, v199                              // 000000008CC8: 0B8F8F19
	v_mul_f32_dpp v196, v12, v196 row_newbcast:12 row_mask:0xf bank_mask:0xf// 000000008CCC: 0B8988FA FF015C0C
	v_mul_f32_dpp v197, v12, v197 row_newbcast:13 row_mask:0xf bank_mask:0xf// 000000008CD4: 0B8B8AFA FF015D0C
	v_mul_f32_dpp v198, v12, v198 row_newbcast:14 row_mask:0xf bank_mask:0xf// 000000008CDC: 0B8D8CFA FF015E0C
	v_mul_f32_dpp v199, v12, v199 row_newbcast:15 row_mask:0xf bank_mask:0xf// 000000008CE4: 0B8F8EFA FF015F0C
	v_mul_f32_e32 v196, v21, v196                              // 000000008CEC: 0B898915
	v_mul_f32_e32 v197, v21, v197                              // 000000008CF0: 0B8B8B15
	v_mul_f32_e32 v198, v21, v198                              // 000000008CF4: 0B8D8D15
	v_mul_f32_e32 v199, v21, v199                              // 000000008CF8: 0B8F8F15
	v_cvt_pkrtz_f16_f32 v168, v168, v169                       // 000000008CFC: D29600A8 000353A8
	v_cvt_pkrtz_f16_f32 v169, v170, v171                       // 000000008D04: D29600A9 000357AA
	v_cvt_pkrtz_f16_f32 v170, v172, v173                       // 000000008D0C: D29600AA 00035BAC
	v_cvt_pkrtz_f16_f32 v171, v174, v175                       // 000000008D14: D29600AB 00035FAE
	v_cvt_pkrtz_f16_f32 v172, v176, v177                       // 000000008D1C: D29600AC 000363B0
	v_cvt_pkrtz_f16_f32 v173, v178, v179                       // 000000008D24: D29600AD 000367B2
	v_cvt_pkrtz_f16_f32 v174, v180, v181                       // 000000008D2C: D29600AE 00036BB4
	v_cvt_pkrtz_f16_f32 v175, v182, v183                       // 000000008D34: D29600AF 00036FB6
	v_cvt_pkrtz_f16_f32 v176, v184, v185                       // 000000008D3C: D29600B0 000373B8
	v_cvt_pkrtz_f16_f32 v177, v186, v187                       // 000000008D44: D29600B1 000377BA
	v_cvt_pkrtz_f16_f32 v178, v188, v189                       // 000000008D4C: D29600B2 00037BBC
	v_cvt_pkrtz_f16_f32 v179, v190, v191                       // 000000008D54: D29600B3 00037FBE
	v_cvt_pkrtz_f16_f32 v180, v192, v193                       // 000000008D5C: D29600B4 000383C0
	v_cvt_pkrtz_f16_f32 v181, v194, v195                       // 000000008D64: D29600B5 000387C2
	v_cvt_pkrtz_f16_f32 v182, v196, v197                       // 000000008D6C: D29600B6 00038BC4
	v_cvt_pkrtz_f16_f32 v183, v198, v199                       // 000000008D74: D29600B7 00038FC6
	ds_write_b64 v3, v[168:169] offset:28928                   // 000000008D7C: D89A7100 0000A803
	ds_write_b64 v3, v[170:171] offset:37632                   // 000000008D84: D89A9300 0000AA03
	ds_write_b64 v3, v[172:173] offset:31104                   // 000000008D8C: D89A7980 0000AC03
	ds_write_b64 v3, v[174:175] offset:39808                   // 000000008D94: D89A9B80 0000AE03
	ds_write_b64 v3, v[176:177] offset:33280                   // 000000008D9C: D89A8200 0000B003
	ds_write_b64 v3, v[178:179] offset:41984                   // 000000008DA4: D89AA400 0000B203
	ds_write_b64 v3, v[180:181] offset:35456                   // 000000008DAC: D89A8A80 0000B403
	ds_write_b64 v3, v[182:183] offset:44160                   // 000000008DB4: D89AAC80 0000B603
	s_waitcnt lgkmcnt(0)                                       // 000000008DBC: BF8CC07F
	s_barrier                                                  // 000000008DC0: BF8A0000
	ds_read_b32 v64, v4 offset:28928                           // 000000008DC4: D86C7100 40000004
	ds_read_b32 v65, v4 offset:33280                           // 000000008DCC: D86C8200 41000004
	ds_read_b32 v66, v4 offset:28960                           // 000000008DD4: D86C7120 42000004
	ds_read_b32 v67, v4 offset:33312                           // 000000008DDC: D86C8220 43000004
	ds_read_b32 v68, v4 offset:28992                           // 000000008DE4: D86C7140 44000004
	ds_read_b32 v69, v4 offset:33344                           // 000000008DEC: D86C8240 45000004
	ds_read_b32 v70, v4 offset:29024                           // 000000008DF4: D86C7160 46000004
	ds_read_b32 v71, v4 offset:33376                           // 000000008DFC: D86C8260 47000004
	ds_read_b32 v72, v4 offset:37632                           // 000000008E04: D86C9300 48000004
	ds_read_b32 v73, v4 offset:41984                           // 000000008E0C: D86CA400 49000004
	ds_read_b32 v74, v4 offset:37664                           // 000000008E14: D86C9320 4A000004
	ds_read_b32 v75, v4 offset:42016                           // 000000008E1C: D86CA420 4B000004
	ds_read_b32 v76, v4 offset:37696                           // 000000008E24: D86C9340 4C000004
	ds_read_b32 v77, v4 offset:42048                           // 000000008E2C: D86CA440 4D000004
	ds_read_b32 v78, v4 offset:37728                           // 000000008E34: D86C9360 4E000004
	ds_read_b32 v79, v4 offset:42080                           // 000000008E3C: D86CA460 4F000004
	s_waitcnt lgkmcnt(0)                                       // 000000008E44: BF8CC07F
	s_mov_b64 exec, s[20:21]                                   // 000000008E48: BEFE0114
	global_atomic_pk_add_f16 v80, v64, s[8:9]                  // 000000008E4C: DD388000 00084050
	s_mov_b64 exec, s[36:37]                                   // 000000008E54: BEFE0124
	s_mov_b64 exec, s[20:21]                                   // 000000008E58: BEFE0114
	global_atomic_pk_add_f16 v80, v65, s[8:9] offset:256       // 000000008E5C: DD388100 00084150
	s_mov_b64 exec, s[36:37]                                   // 000000008E64: BEFE0124
	s_mov_b64 exec, s[22:23]                                   // 000000008E68: BEFE0116
	global_atomic_pk_add_f16 v82, v66, s[8:9]                  // 000000008E6C: DD388000 00084252
	s_mov_b64 exec, s[36:37]                                   // 000000008E74: BEFE0124
	s_mov_b64 exec, s[22:23]                                   // 000000008E78: BEFE0116
	global_atomic_pk_add_f16 v82, v67, s[8:9] offset:256       // 000000008E7C: DD388100 00084352
	s_mov_b64 exec, s[36:37]                                   // 000000008E84: BEFE0124
	s_mov_b64 exec, s[24:25]                                   // 000000008E88: BEFE0118
	global_atomic_pk_add_f16 v84, v68, s[8:9]                  // 000000008E8C: DD388000 00084454
	s_mov_b64 exec, s[36:37]                                   // 000000008E94: BEFE0124
	s_mov_b64 exec, s[24:25]                                   // 000000008E98: BEFE0118
	global_atomic_pk_add_f16 v84, v69, s[8:9] offset:256       // 000000008E9C: DD388100 00084554
	s_mov_b64 exec, s[36:37]                                   // 000000008EA4: BEFE0124
	s_mov_b64 exec, s[26:27]                                   // 000000008EA8: BEFE011A
	global_atomic_pk_add_f16 v86, v70, s[8:9]                  // 000000008EAC: DD388000 00084656
	s_mov_b64 exec, s[36:37]                                   // 000000008EB4: BEFE0124
	s_mov_b64 exec, s[26:27]                                   // 000000008EB8: BEFE011A
	global_atomic_pk_add_f16 v86, v71, s[8:9] offset:256       // 000000008EBC: DD388100 00084756
	s_mov_b64 exec, s[36:37]                                   // 000000008EC4: BEFE0124
	s_mov_b64 exec, s[28:29]                                   // 000000008EC8: BEFE011C
	global_atomic_pk_add_f16 v88, v72, s[8:9]                  // 000000008ECC: DD388000 00084858
	s_mov_b64 exec, s[36:37]                                   // 000000008ED4: BEFE0124
	s_mov_b64 exec, s[28:29]                                   // 000000008ED8: BEFE011C
	global_atomic_pk_add_f16 v88, v73, s[8:9] offset:256       // 000000008EDC: DD388100 00084958
	s_mov_b64 exec, s[36:37]                                   // 000000008EE4: BEFE0124
	s_mov_b64 exec, s[30:31]                                   // 000000008EE8: BEFE011E
	global_atomic_pk_add_f16 v90, v74, s[8:9]                  // 000000008EEC: DD388000 00084A5A
	s_mov_b64 exec, s[36:37]                                   // 000000008EF4: BEFE0124
	s_mov_b64 exec, s[30:31]                                   // 000000008EF8: BEFE011E
	global_atomic_pk_add_f16 v90, v75, s[8:9] offset:256       // 000000008EFC: DD388100 00084B5A
	s_mov_b64 exec, s[36:37]                                   // 000000008F04: BEFE0124
	s_mov_b64 exec, s[32:33]                                   // 000000008F08: BEFE0120
	global_atomic_pk_add_f16 v92, v76, s[8:9]                  // 000000008F0C: DD388000 00084C5C
	s_mov_b64 exec, s[36:37]                                   // 000000008F14: BEFE0124
	s_mov_b64 exec, s[32:33]                                   // 000000008F18: BEFE0120
	global_atomic_pk_add_f16 v92, v77, s[8:9] offset:256       // 000000008F1C: DD388100 00084D5C
	s_mov_b64 exec, s[36:37]                                   // 000000008F24: BEFE0124
	s_mov_b64 exec, s[34:35]                                   // 000000008F28: BEFE0122
	global_atomic_pk_add_f16 v94, v78, s[8:9]                  // 000000008F2C: DD388000 00084E5E
	s_mov_b64 exec, s[36:37]                                   // 000000008F34: BEFE0124
	s_mov_b64 exec, s[34:35]                                   // 000000008F38: BEFE0122
	global_atomic_pk_add_f16 v94, v79, s[8:9] offset:256       // 000000008F3C: DD388100 00084F5E
	s_mov_b64 exec, s[36:37]                                   // 000000008F44: BEFE0124
	s_add_u32 s8, s59, s8                                      // 000000008F48: 8008083B
	s_addc_u32 s9, 0, s9                                       // 000000008F4C: 82090980
	s_addk_i32 s80, 0x100                                      // 000000008F50: B7500100
	s_cmp_lt_i32 s80, s81                                      // 000000008F54: BF045150
	s_cbranch_scc0 label_0E94                                  // 000000008F58: BF84F63D
	s_waitcnt vmcnt(33)                                        // 000000008F5C: BF8C8F71
	s_barrier                                                  // 000000008F60: BF8A0000
	v_mfma_f32_16x16x32_fp8_fp8 v[200:203], a[80:81], v[128:129], 0// 000000008F64: D3F300C8 0A030150
	buffer_load_dwordx4 a[0:3], v39, s[12:15], 0 offen         // 000000008F6C: E05C1000 80830027
	v_mfma_f32_16x16x32_fp8_fp8 v[200:203], a[82:83], v[130:131], v[200:203]// 000000008F74: D3F300C8 0F230552
	v_mfma_f32_16x16x32_fp8_fp8 v[204:207], a[80:81], v[148:149], 0// 000000008F7C: D3F300CC 0A032950
	v_mfma_f32_16x16x32_fp8_fp8 v[204:207], a[82:83], v[150:151], v[204:207]// 000000008F84: D3F300CC 0F332D52
	v_mfma_f32_16x16x32_fp8_fp8 v[208:211], a[84:85], v[128:129], 0// 000000008F8C: D3F300D0 0A030154
	buffer_load_dwordx4 a[4:7], v40, s[12:15], 0 offen         // 000000008F94: E05C1000 80830428
	v_mfma_f32_16x16x32_fp8_fp8 v[208:211], a[86:87], v[130:131], v[208:211]// 000000008F9C: D3F300D0 0F430556
	v_mfma_f32_16x16x32_fp8_fp8 v[212:215], a[84:85], v[148:149], 0// 000000008FA4: D3F300D4 0A032954
	v_mfma_f32_16x16x32_fp8_fp8 v[212:215], a[86:87], v[150:151], v[212:215]// 000000008FAC: D3F300D4 0F532D56
	v_mfma_f32_16x16x32_fp8_fp8 v[216:219], a[88:89], v[128:129], 0// 000000008FB4: D3F300D8 0A030158
	buffer_load_dwordx4 a[8:11], v41, s[12:15], 0 offen        // 000000008FBC: E05C1000 80830829
	v_mfma_f32_16x16x32_fp8_fp8 v[216:219], a[90:91], v[130:131], v[216:219]// 000000008FC4: D3F300D8 0F63055A
	v_mfma_f32_16x16x32_fp8_fp8 v[220:223], a[88:89], v[148:149], 0// 000000008FCC: D3F300DC 0A032958
	v_mfma_f32_16x16x32_fp8_fp8 v[220:223], a[90:91], v[150:151], v[220:223]// 000000008FD4: D3F300DC 0F732D5A
	v_mfma_f32_16x16x32_fp8_fp8 v[224:227], a[92:93], v[128:129], 0// 000000008FDC: D3F300E0 0A03015C
	buffer_load_dwordx4 a[12:15], v42, s[12:15], 0 offen       // 000000008FE4: E05C1000 80830C2A
	s_add_u32 s12, s78, s12                                    // 000000008FEC: 800C0C4E
	s_addc_u32 s13, 0, s13                                     // 000000008FF0: 820D0D80
	v_mfma_f32_16x16x32_fp8_fp8 v[224:227], a[94:95], v[130:131], v[224:227]// 000000008FF4: D3F300E0 0F83055E
	v_mfma_f32_16x16x32_fp8_fp8 v[228:231], a[92:93], v[148:149], 0// 000000008FFC: D3F300E4 0A03295C
	v_mfma_f32_16x16x32_fp8_fp8 v[228:231], a[94:95], v[150:151], v[228:231]// 000000009004: D3F300E4 0F932D5E
	s_waitcnt vmcnt(33)                                        // 00000000900C: BF8C8F71
	v_mfma_f32_16x16x32_fp8_fp8 v[200:203], a[96:97], v[132:133], v[200:203]// 000000009010: D3F300C8 0F230960
	buffer_load_dwordx4 a[16:19], v39, s[12:15], 0 offen       // 000000009018: E05C1000 80831027
	v_mfma_f32_16x16x32_fp8_fp8 v[200:203], a[98:99], v[134:135], v[200:203]// 000000009020: D3F300C8 0F230D62
	v_mfma_f32_16x16x32_fp8_fp8 v[204:207], a[96:97], v[152:153], v[204:207]// 000000009028: D3F300CC 0F333160
	v_mfma_f32_16x16x32_fp8_fp8 v[204:207], a[98:99], v[154:155], v[204:207]// 000000009030: D3F300CC 0F333562
	v_mfma_f32_16x16x32_fp8_fp8 v[208:211], a[100:101], v[132:133], v[208:211]// 000000009038: D3F300D0 0F430964
	buffer_load_dwordx4 a[20:23], v40, s[12:15], 0 offen       // 000000009040: E05C1000 80831428
	v_mfma_f32_16x16x32_fp8_fp8 v[208:211], a[102:103], v[134:135], v[208:211]// 000000009048: D3F300D0 0F430D66
	v_mfma_f32_16x16x32_fp8_fp8 v[212:215], a[100:101], v[152:153], v[212:215]// 000000009050: D3F300D4 0F533164
	v_mfma_f32_16x16x32_fp8_fp8 v[212:215], a[102:103], v[154:155], v[212:215]// 000000009058: D3F300D4 0F533566
	v_mfma_f32_16x16x32_fp8_fp8 v[216:219], a[104:105], v[132:133], v[216:219]// 000000009060: D3F300D8 0F630968
	buffer_load_dwordx4 a[24:27], v41, s[12:15], 0 offen       // 000000009068: E05C1000 80831829
	v_mfma_f32_16x16x32_fp8_fp8 v[216:219], a[106:107], v[134:135], v[216:219]// 000000009070: D3F300D8 0F630D6A
	v_mfma_f32_16x16x32_fp8_fp8 v[220:223], a[104:105], v[152:153], v[220:223]// 000000009078: D3F300DC 0F733168
	v_mfma_f32_16x16x32_fp8_fp8 v[220:223], a[106:107], v[154:155], v[220:223]// 000000009080: D3F300DC 0F73356A
	v_mfma_f32_16x16x32_fp8_fp8 v[224:227], a[108:109], v[132:133], v[224:227]// 000000009088: D3F300E0 0F83096C
	buffer_load_dwordx4 a[28:31], v42, s[12:15], 0 offen       // 000000009090: E05C1000 80831C2A
	s_add_u32 s12, s78, s12                                    // 000000009098: 800C0C4E
	s_addc_u32 s13, 0, s13                                     // 00000000909C: 820D0D80
	v_mfma_f32_16x16x32_fp8_fp8 v[224:227], a[110:111], v[134:135], v[224:227]// 0000000090A0: D3F300E0 0F830D6E
	v_mfma_f32_16x16x32_fp8_fp8 v[228:231], a[108:109], v[152:153], v[228:231]// 0000000090A8: D3F300E4 0F93316C
	v_mfma_f32_16x16x32_fp8_fp8 v[228:231], a[110:111], v[154:155], v[228:231]// 0000000090B0: D3F300E4 0F93356E
	s_waitcnt vmcnt(33)                                        // 0000000090B8: BF8C8F71
	v_mfma_f32_16x16x32_fp8_fp8 v[200:203], a[112:113], v[136:137], v[200:203]// 0000000090BC: D3F300C8 0F231170
	buffer_load_dwordx4 a[32:35], v39, s[12:15], 0 offen       // 0000000090C4: E05C1000 80832027
	v_mfma_f32_16x16x32_fp8_fp8 v[200:203], a[114:115], v[138:139], v[200:203]// 0000000090CC: D3F300C8 0F231572
	v_mfma_f32_16x16x32_fp8_fp8 v[204:207], a[112:113], v[156:157], v[204:207]// 0000000090D4: D3F300CC 0F333970
	v_mfma_f32_16x16x32_fp8_fp8 v[204:207], a[114:115], v[158:159], v[204:207]// 0000000090DC: D3F300CC 0F333D72
	v_mfma_f32_16x16x32_fp8_fp8 v[208:211], a[116:117], v[136:137], v[208:211]// 0000000090E4: D3F300D0 0F431174
	buffer_load_dwordx4 a[36:39], v40, s[12:15], 0 offen       // 0000000090EC: E05C1000 80832428
	v_mfma_f32_16x16x32_fp8_fp8 v[208:211], a[118:119], v[138:139], v[208:211]// 0000000090F4: D3F300D0 0F431576
	v_mfma_f32_16x16x32_fp8_fp8 v[212:215], a[116:117], v[156:157], v[212:215]// 0000000090FC: D3F300D4 0F533974
	v_mfma_f32_16x16x32_fp8_fp8 v[212:215], a[118:119], v[158:159], v[212:215]// 000000009104: D3F300D4 0F533D76
	v_mfma_f32_16x16x32_fp8_fp8 v[216:219], a[120:121], v[136:137], v[216:219]// 00000000910C: D3F300D8 0F631178
	buffer_load_dwordx4 a[40:43], v41, s[12:15], 0 offen       // 000000009114: E05C1000 80832829
	v_mfma_f32_16x16x32_fp8_fp8 v[216:219], a[122:123], v[138:139], v[216:219]// 00000000911C: D3F300D8 0F63157A
	v_mfma_f32_16x16x32_fp8_fp8 v[220:223], a[120:121], v[156:157], v[220:223]// 000000009124: D3F300DC 0F733978
	v_mfma_f32_16x16x32_fp8_fp8 v[220:223], a[122:123], v[158:159], v[220:223]// 00000000912C: D3F300DC 0F733D7A
	v_mfma_f32_16x16x32_fp8_fp8 v[224:227], a[124:125], v[136:137], v[224:227]// 000000009134: D3F300E0 0F83117C
	buffer_load_dwordx4 a[44:47], v42, s[12:15], 0 offen       // 00000000913C: E05C1000 80832C2A
	s_add_u32 s12, s78, s12                                    // 000000009144: 800C0C4E
	s_addc_u32 s13, 0, s13                                     // 000000009148: 820D0D80
	v_mfma_f32_16x16x32_fp8_fp8 v[224:227], a[126:127], v[138:139], v[224:227]// 00000000914C: D3F300E0 0F83157E
	v_mfma_f32_16x16x32_fp8_fp8 v[228:231], a[124:125], v[156:157], v[228:231]// 000000009154: D3F300E4 0F93397C
	v_mfma_f32_16x16x32_fp8_fp8 v[228:231], a[126:127], v[158:159], v[228:231]// 00000000915C: D3F300E4 0F933D7E
	s_waitcnt vmcnt(33)                                        // 000000009164: BF8C8F71
	v_mfma_f32_16x16x32_fp8_fp8 v[200:203], a[128:129], v[140:141], v[200:203]// 000000009168: D3F300C8 0F231980
	buffer_load_dwordx4 a[48:51], v39, s[12:15], 0 offen       // 000000009170: E05C1000 80833027
	v_mfma_f32_16x16x32_fp8_fp8 v[200:203], a[130:131], v[142:143], v[200:203]// 000000009178: D3F300C8 0F231D82
	v_mfma_f32_16x16x32_fp8_fp8 v[204:207], a[128:129], v[160:161], v[204:207]// 000000009180: D3F300CC 0F334180
	v_mfma_f32_16x16x32_fp8_fp8 v[204:207], a[130:131], v[162:163], v[204:207]// 000000009188: D3F300CC 0F334582
	v_mfma_f32_16x16x32_fp8_fp8 v[208:211], a[132:133], v[140:141], v[208:211]// 000000009190: D3F300D0 0F431984
	buffer_load_dwordx4 a[52:55], v40, s[12:15], 0 offen       // 000000009198: E05C1000 80833428
	v_mfma_f32_16x16x32_fp8_fp8 v[208:211], a[134:135], v[142:143], v[208:211]// 0000000091A0: D3F300D0 0F431D86
	v_mfma_f32_16x16x32_fp8_fp8 v[212:215], a[132:133], v[160:161], v[212:215]// 0000000091A8: D3F300D4 0F534184
	v_mfma_f32_16x16x32_fp8_fp8 v[212:215], a[134:135], v[162:163], v[212:215]// 0000000091B0: D3F300D4 0F534586
	v_mfma_f32_16x16x32_fp8_fp8 v[216:219], a[136:137], v[140:141], v[216:219]// 0000000091B8: D3F300D8 0F631988
	buffer_load_dwordx4 a[56:59], v41, s[12:15], 0 offen       // 0000000091C0: E05C1000 80833829
	v_mfma_f32_16x16x32_fp8_fp8 v[216:219], a[138:139], v[142:143], v[216:219]// 0000000091C8: D3F300D8 0F631D8A
	v_mfma_f32_16x16x32_fp8_fp8 v[220:223], a[136:137], v[160:161], v[220:223]// 0000000091D0: D3F300DC 0F734188
	v_mfma_f32_16x16x32_fp8_fp8 v[220:223], a[138:139], v[162:163], v[220:223]// 0000000091D8: D3F300DC 0F73458A
	v_mfma_f32_16x16x32_fp8_fp8 v[224:227], a[140:141], v[140:141], v[224:227]// 0000000091E0: D3F300E0 0F83198C
	buffer_load_dwordx4 a[60:63], v42, s[12:15], 0 offen       // 0000000091E8: E05C1000 80833C2A
	s_add_u32 s12, s78, s12                                    // 0000000091F0: 800C0C4E
	s_addc_u32 s13, 0, s13                                     // 0000000091F4: 820D0D80
	v_mfma_f32_16x16x32_fp8_fp8 v[224:227], a[142:143], v[142:143], v[224:227]// 0000000091F8: D3F300E0 0F831D8E
	v_mfma_f32_16x16x32_fp8_fp8 v[228:231], a[140:141], v[160:161], v[228:231]// 000000009200: D3F300E4 0F93418C
	v_mfma_f32_16x16x32_fp8_fp8 v[228:231], a[142:143], v[162:163], v[228:231]// 000000009208: D3F300E4 0F93458E
	s_waitcnt vmcnt(32)                                        // 000000009210: BF8C8F70
	v_mfma_f32_16x16x32_fp8_fp8 v[200:203], a[144:145], v[144:145], v[200:203]// 000000009214: D3F300C8 0F232190
	buffer_load_dwordx4 a[64:67], v39, s[12:15], 0 offen       // 00000000921C: E05C1000 80834027
	v_mfma_f32_16x16x32_fp8_fp8 v[200:203], a[146:147], v[146:147], v[200:203]// 000000009224: D3F300C8 0F232592
	v_mfma_f32_16x16x32_fp8_fp8 v[204:207], a[144:145], v[164:165], v[204:207]// 00000000922C: D3F300CC 0F334990
	buffer_load_dword v12, v5, s[16:19], 0 offen               // 000000009234: E0501000 80040C05
	v_mfma_f32_16x16x32_fp8_fp8 v[204:207], a[146:147], v[166:167], v[204:207]// 00000000923C: D3F300CC 0F334D92
	v_mfma_f32_16x16x32_fp8_fp8 v[208:211], a[148:149], v[144:145], v[208:211]// 000000009244: D3F300D0 0F432194
	buffer_load_dwordx4 a[68:71], v40, s[12:15], 0 offen       // 00000000924C: E05C1000 80834428
	v_mfma_f32_16x16x32_fp8_fp8 v[208:211], a[150:151], v[146:147], v[208:211]// 000000009254: D3F300D0 0F432596
	v_mfma_f32_16x16x32_fp8_fp8 v[212:215], a[148:149], v[164:165], v[212:215]// 00000000925C: D3F300D4 0F534994
	v_mfma_f32_16x16x32_fp8_fp8 v[212:215], a[150:151], v[166:167], v[212:215]// 000000009264: D3F300D4 0F534D96
	v_mfma_f32_16x16x32_fp8_fp8 v[216:219], a[152:153], v[144:145], v[216:219]// 00000000926C: D3F300D8 0F632198
	buffer_load_dwordx4 a[72:75], v41, s[12:15], 0 offen       // 000000009274: E05C1000 80834829
	v_mfma_f32_16x16x32_fp8_fp8 v[216:219], a[154:155], v[146:147], v[216:219]// 00000000927C: D3F300D8 0F63259A
	v_mfma_f32_16x16x32_fp8_fp8 v[220:223], a[152:153], v[164:165], v[220:223]// 000000009284: D3F300DC 0F734998
	v_mfma_f32_16x16x32_fp8_fp8 v[220:223], a[154:155], v[166:167], v[220:223]// 00000000928C: D3F300DC 0F734D9A
	v_mfma_f32_16x16x32_fp8_fp8 v[224:227], a[156:157], v[144:145], v[224:227]// 000000009294: D3F300E0 0F83219C
	buffer_load_dwordx4 a[76:79], v42, s[12:15], 0 offen       // 00000000929C: E05C1000 80834C2A
	v_mfma_f32_16x16x32_fp8_fp8 v[224:227], a[158:159], v[146:147], v[224:227]// 0000000092A4: D3F300E0 0F83259E
	v_mfma_f32_16x16x32_fp8_fp8 v[228:231], a[156:157], v[164:165], v[228:231]// 0000000092AC: D3F300E4 0F93499C
	v_mfma_f32_16x16x32_fp8_fp8 v[228:231], a[158:159], v[166:167], v[228:231]// 0000000092B4: D3F300E4 0F934D9E
	s_add_u32 s60, 0x200, s80                                  // 0000000092BC: 803C50FF 00000200
	s_cmp_lt_u32 s60, s81                                      // 0000000092C4: BF0A513C
	s_cselect_b32 s56, s56, 0                                  // 0000000092C8: 85388038
	s_cselect_b32 s78, s78, 0                                  // 0000000092CC: 854E804E
	s_cselect_b32 s79, s79, 0                                  // 0000000092D0: 854F804F
	s_add_u32 s12, s56, s12                                    // 0000000092D4: 800C0C38
	s_addc_u32 s13, 0, s13                                     // 0000000092D8: 820D0D80
	s_add_u32 s16, s79, s16                                    // 0000000092DC: 8010104F
	s_addc_u32 s17, 0, s17                                     // 0000000092E0: 82111180
	v_mul_f32_e32 v200, v24, v200                              // 0000000092E4: 0B919118
	v_mul_f32_e32 v201, v24, v201                              // 0000000092E8: 0B939318
	v_mul_f32_e32 v202, v24, v202                              // 0000000092EC: 0B959518
	v_mul_f32_e32 v203, v24, v203                              // 0000000092F0: 0B979718
	v_mul_f32_dpp v200, v13, v200 row_newbcast:0 row_mask:0xf bank_mask:0xf// 0000000092F4: 0B9190FA FF01500D
	v_mul_f32_dpp v201, v13, v201 row_newbcast:1 row_mask:0xf bank_mask:0xf// 0000000092FC: 0B9392FA FF01510D
	v_mul_f32_dpp v202, v13, v202 row_newbcast:2 row_mask:0xf bank_mask:0xf// 000000009304: 0B9594FA FF01520D
	v_mul_f32_dpp v203, v13, v203 row_newbcast:3 row_mask:0xf bank_mask:0xf// 00000000930C: 0B9796FA FF01530D
	v_mul_f32_e32 v200, v20, v200                              // 000000009314: 0B919114
	v_mul_f32_e32 v201, v20, v201                              // 000000009318: 0B939314
	v_mul_f32_e32 v202, v20, v202                              // 00000000931C: 0B959514
	v_mul_f32_e32 v203, v20, v203                              // 000000009320: 0B979714
	v_mul_f32_e32 v204, v25, v204                              // 000000009324: 0B999919
	v_mul_f32_e32 v205, v25, v205                              // 000000009328: 0B9B9B19
	v_mul_f32_e32 v206, v25, v206                              // 00000000932C: 0B9D9D19
	v_mul_f32_e32 v207, v25, v207                              // 000000009330: 0B9F9F19
	v_mul_f32_dpp v204, v13, v204 row_newbcast:0 row_mask:0xf bank_mask:0xf// 000000009334: 0B9998FA FF01500D
	v_mul_f32_dpp v205, v13, v205 row_newbcast:1 row_mask:0xf bank_mask:0xf// 00000000933C: 0B9B9AFA FF01510D
	v_mul_f32_dpp v206, v13, v206 row_newbcast:2 row_mask:0xf bank_mask:0xf// 000000009344: 0B9D9CFA FF01520D
	v_mul_f32_dpp v207, v13, v207 row_newbcast:3 row_mask:0xf bank_mask:0xf// 00000000934C: 0B9F9EFA FF01530D
	v_mul_f32_e32 v204, v21, v204                              // 000000009354: 0B999915
	v_mul_f32_e32 v205, v21, v205                              // 000000009358: 0B9B9B15
	v_mul_f32_e32 v206, v21, v206                              // 00000000935C: 0B9D9D15
	v_mul_f32_e32 v207, v21, v207                              // 000000009360: 0B9F9F15
	v_mul_f32_e32 v208, v24, v208                              // 000000009364: 0BA1A118
	v_mul_f32_e32 v209, v24, v209                              // 000000009368: 0BA3A318
	v_mul_f32_e32 v210, v24, v210                              // 00000000936C: 0BA5A518
	v_mul_f32_e32 v211, v24, v211                              // 000000009370: 0BA7A718
	v_mul_f32_dpp v208, v13, v208 row_newbcast:4 row_mask:0xf bank_mask:0xf// 000000009374: 0BA1A0FA FF01540D
	v_mul_f32_dpp v209, v13, v209 row_newbcast:5 row_mask:0xf bank_mask:0xf// 00000000937C: 0BA3A2FA FF01550D
	v_mul_f32_dpp v210, v13, v210 row_newbcast:6 row_mask:0xf bank_mask:0xf// 000000009384: 0BA5A4FA FF01560D
	v_mul_f32_dpp v211, v13, v211 row_newbcast:7 row_mask:0xf bank_mask:0xf// 00000000938C: 0BA7A6FA FF01570D
	v_mul_f32_e32 v208, v20, v208                              // 000000009394: 0BA1A114
	v_mul_f32_e32 v209, v20, v209                              // 000000009398: 0BA3A314
	v_mul_f32_e32 v210, v20, v210                              // 00000000939C: 0BA5A514
	v_mul_f32_e32 v211, v20, v211                              // 0000000093A0: 0BA7A714
	v_mul_f32_e32 v212, v25, v212                              // 0000000093A4: 0BA9A919
	v_mul_f32_e32 v213, v25, v213                              // 0000000093A8: 0BABAB19
	v_mul_f32_e32 v214, v25, v214                              // 0000000093AC: 0BADAD19
	v_mul_f32_e32 v215, v25, v215                              // 0000000093B0: 0BAFAF19
	v_mul_f32_dpp v212, v13, v212 row_newbcast:4 row_mask:0xf bank_mask:0xf// 0000000093B4: 0BA9A8FA FF01540D
	v_mul_f32_dpp v213, v13, v213 row_newbcast:5 row_mask:0xf bank_mask:0xf// 0000000093BC: 0BABAAFA FF01550D
	v_mul_f32_dpp v214, v13, v214 row_newbcast:6 row_mask:0xf bank_mask:0xf// 0000000093C4: 0BADACFA FF01560D
	v_mul_f32_dpp v215, v13, v215 row_newbcast:7 row_mask:0xf bank_mask:0xf// 0000000093CC: 0BAFAEFA FF01570D
	v_mul_f32_e32 v212, v21, v212                              // 0000000093D4: 0BA9A915
	v_mul_f32_e32 v213, v21, v213                              // 0000000093D8: 0BABAB15
	v_mul_f32_e32 v214, v21, v214                              // 0000000093DC: 0BADAD15
	v_mul_f32_e32 v215, v21, v215                              // 0000000093E0: 0BAFAF15
	v_mul_f32_e32 v216, v24, v216                              // 0000000093E4: 0BB1B118
	v_mul_f32_e32 v217, v24, v217                              // 0000000093E8: 0BB3B318
	v_mul_f32_e32 v218, v24, v218                              // 0000000093EC: 0BB5B518
	v_mul_f32_e32 v219, v24, v219                              // 0000000093F0: 0BB7B718
	v_mul_f32_dpp v216, v13, v216 row_newbcast:8 row_mask:0xf bank_mask:0xf// 0000000093F4: 0BB1B0FA FF01580D
	v_mul_f32_dpp v217, v13, v217 row_newbcast:9 row_mask:0xf bank_mask:0xf// 0000000093FC: 0BB3B2FA FF01590D
	v_mul_f32_dpp v218, v13, v218 row_newbcast:10 row_mask:0xf bank_mask:0xf// 000000009404: 0BB5B4FA FF015A0D
	v_mul_f32_dpp v219, v13, v219 row_newbcast:11 row_mask:0xf bank_mask:0xf// 00000000940C: 0BB7B6FA FF015B0D
	v_mul_f32_e32 v216, v20, v216                              // 000000009414: 0BB1B114
	v_mul_f32_e32 v217, v20, v217                              // 000000009418: 0BB3B314
	v_mul_f32_e32 v218, v20, v218                              // 00000000941C: 0BB5B514
	v_mul_f32_e32 v219, v20, v219                              // 000000009420: 0BB7B714
	v_mul_f32_e32 v220, v25, v220                              // 000000009424: 0BB9B919
	v_mul_f32_e32 v221, v25, v221                              // 000000009428: 0BBBBB19
	v_mul_f32_e32 v222, v25, v222                              // 00000000942C: 0BBDBD19
	v_mul_f32_e32 v223, v25, v223                              // 000000009430: 0BBFBF19
	v_mul_f32_dpp v220, v13, v220 row_newbcast:8 row_mask:0xf bank_mask:0xf// 000000009434: 0BB9B8FA FF01580D
	v_mul_f32_dpp v221, v13, v221 row_newbcast:9 row_mask:0xf bank_mask:0xf// 00000000943C: 0BBBBAFA FF01590D
	v_mul_f32_dpp v222, v13, v222 row_newbcast:10 row_mask:0xf bank_mask:0xf// 000000009444: 0BBDBCFA FF015A0D
	v_mul_f32_dpp v223, v13, v223 row_newbcast:11 row_mask:0xf bank_mask:0xf// 00000000944C: 0BBFBEFA FF015B0D
	v_mul_f32_e32 v220, v21, v220                              // 000000009454: 0BB9B915
	v_mul_f32_e32 v221, v21, v221                              // 000000009458: 0BBBBB15
	v_mul_f32_e32 v222, v21, v222                              // 00000000945C: 0BBDBD15
	v_mul_f32_e32 v223, v21, v223                              // 000000009460: 0BBFBF15
	v_mul_f32_e32 v224, v24, v224                              // 000000009464: 0BC1C118
	v_mul_f32_e32 v225, v24, v225                              // 000000009468: 0BC3C318
	v_mul_f32_e32 v226, v24, v226                              // 00000000946C: 0BC5C518
	v_mul_f32_e32 v227, v24, v227                              // 000000009470: 0BC7C718
	v_mul_f32_dpp v224, v13, v224 row_newbcast:12 row_mask:0xf bank_mask:0xf// 000000009474: 0BC1C0FA FF015C0D
	v_mul_f32_dpp v225, v13, v225 row_newbcast:13 row_mask:0xf bank_mask:0xf// 00000000947C: 0BC3C2FA FF015D0D
	v_mul_f32_dpp v226, v13, v226 row_newbcast:14 row_mask:0xf bank_mask:0xf// 000000009484: 0BC5C4FA FF015E0D
	v_mul_f32_dpp v227, v13, v227 row_newbcast:15 row_mask:0xf bank_mask:0xf// 00000000948C: 0BC7C6FA FF015F0D
	v_mul_f32_e32 v224, v20, v224                              // 000000009494: 0BC1C114
	v_mul_f32_e32 v225, v20, v225                              // 000000009498: 0BC3C314
	v_mul_f32_e32 v226, v20, v226                              // 00000000949C: 0BC5C514
	v_mul_f32_e32 v227, v20, v227                              // 0000000094A0: 0BC7C714
	v_mul_f32_e32 v228, v25, v228                              // 0000000094A4: 0BC9C919
	v_mul_f32_e32 v229, v25, v229                              // 0000000094A8: 0BCBCB19
	v_mul_f32_e32 v230, v25, v230                              // 0000000094AC: 0BCDCD19
	v_mul_f32_e32 v231, v25, v231                              // 0000000094B0: 0BCFCF19
	v_mul_f32_dpp v228, v13, v228 row_newbcast:12 row_mask:0xf bank_mask:0xf// 0000000094B4: 0BC9C8FA FF015C0D
	v_mul_f32_dpp v229, v13, v229 row_newbcast:13 row_mask:0xf bank_mask:0xf// 0000000094BC: 0BCBCAFA FF015D0D
	v_mul_f32_dpp v230, v13, v230 row_newbcast:14 row_mask:0xf bank_mask:0xf// 0000000094C4: 0BCDCCFA FF015E0D
	v_mul_f32_dpp v231, v13, v231 row_newbcast:15 row_mask:0xf bank_mask:0xf// 0000000094CC: 0BCFCEFA FF015F0D
	v_mul_f32_e32 v228, v21, v228                              // 0000000094D4: 0BC9C915
	v_mul_f32_e32 v229, v21, v229                              // 0000000094D8: 0BCBCB15
	v_mul_f32_e32 v230, v21, v230                              // 0000000094DC: 0BCDCD15
	v_mul_f32_e32 v231, v21, v231                              // 0000000094E0: 0BCFCF15
	v_cvt_pkrtz_f16_f32 v200, v200, v201                       // 0000000094E4: D29600C8 000393C8
	v_cvt_pkrtz_f16_f32 v201, v202, v203                       // 0000000094EC: D29600C9 000397CA
	v_cvt_pkrtz_f16_f32 v202, v204, v205                       // 0000000094F4: D29600CA 00039BCC
	v_cvt_pkrtz_f16_f32 v203, v206, v207                       // 0000000094FC: D29600CB 00039FCE
	v_cvt_pkrtz_f16_f32 v204, v208, v209                       // 000000009504: D29600CC 0003A3D0
	v_cvt_pkrtz_f16_f32 v205, v210, v211                       // 00000000950C: D29600CD 0003A7D2
	v_cvt_pkrtz_f16_f32 v206, v212, v213                       // 000000009514: D29600CE 0003ABD4
	v_cvt_pkrtz_f16_f32 v207, v214, v215                       // 00000000951C: D29600CF 0003AFD6
	v_cvt_pkrtz_f16_f32 v208, v216, v217                       // 000000009524: D29600D0 0003B3D8
	v_cvt_pkrtz_f16_f32 v209, v218, v219                       // 00000000952C: D29600D1 0003B7DA
	v_cvt_pkrtz_f16_f32 v210, v220, v221                       // 000000009534: D29600D2 0003BBDC
	v_cvt_pkrtz_f16_f32 v211, v222, v223                       // 00000000953C: D29600D3 0003BFDE
	v_cvt_pkrtz_f16_f32 v212, v224, v225                       // 000000009544: D29600D4 0003C3E0
	v_cvt_pkrtz_f16_f32 v213, v226, v227                       // 00000000954C: D29600D5 0003C7E2
	v_cvt_pkrtz_f16_f32 v214, v228, v229                       // 000000009554: D29600D6 0003CBE4
	v_cvt_pkrtz_f16_f32 v215, v230, v231                       // 00000000955C: D29600D7 0003CFE6
	ds_write_b64 v3, v[200:201] offset:28928                   // 000000009564: D89A7100 0000C803
	ds_write_b64 v3, v[202:203] offset:37632                   // 00000000956C: D89A9300 0000CA03
	ds_write_b64 v3, v[204:205] offset:31104                   // 000000009574: D89A7980 0000CC03
	ds_write_b64 v3, v[206:207] offset:39808                   // 00000000957C: D89A9B80 0000CE03
	ds_write_b64 v3, v[208:209] offset:33280                   // 000000009584: D89A8200 0000D003
	ds_write_b64 v3, v[210:211] offset:41984                   // 00000000958C: D89AA400 0000D203
	ds_write_b64 v3, v[212:213] offset:35456                   // 000000009594: D89A8A80 0000D403
	ds_write_b64 v3, v[214:215] offset:44160                   // 00000000959C: D89AAC80 0000D603
	s_waitcnt lgkmcnt(0)                                       // 0000000095A4: BF8CC07F
	s_barrier                                                  // 0000000095A8: BF8A0000
	ds_read_b32 v64, v4 offset:28928                           // 0000000095AC: D86C7100 40000004
	ds_read_b32 v65, v4 offset:33280                           // 0000000095B4: D86C8200 41000004
	ds_read_b32 v66, v4 offset:28960                           // 0000000095BC: D86C7120 42000004
	ds_read_b32 v67, v4 offset:33312                           // 0000000095C4: D86C8220 43000004
	ds_read_b32 v68, v4 offset:28992                           // 0000000095CC: D86C7140 44000004
	ds_read_b32 v69, v4 offset:33344                           // 0000000095D4: D86C8240 45000004
	ds_read_b32 v70, v4 offset:29024                           // 0000000095DC: D86C7160 46000004
	ds_read_b32 v71, v4 offset:33376                           // 0000000095E4: D86C8260 47000004
	ds_read_b32 v72, v4 offset:37632                           // 0000000095EC: D86C9300 48000004
	ds_read_b32 v73, v4 offset:41984                           // 0000000095F4: D86CA400 49000004
	ds_read_b32 v74, v4 offset:37664                           // 0000000095FC: D86C9320 4A000004
	ds_read_b32 v75, v4 offset:42016                           // 000000009604: D86CA420 4B000004
	ds_read_b32 v76, v4 offset:37696                           // 00000000960C: D86C9340 4C000004
	ds_read_b32 v77, v4 offset:42048                           // 000000009614: D86CA440 4D000004
	ds_read_b32 v78, v4 offset:37728                           // 00000000961C: D86C9360 4E000004
	ds_read_b32 v79, v4 offset:42080                           // 000000009624: D86CA460 4F000004
	s_waitcnt lgkmcnt(0)                                       // 00000000962C: BF8CC07F
	s_mov_b64 exec, s[20:21]                                   // 000000009630: BEFE0114
	global_atomic_pk_add_f16 v80, v64, s[8:9]                  // 000000009634: DD388000 00084050
	s_mov_b64 exec, s[36:37]                                   // 00000000963C: BEFE0124
	s_mov_b64 exec, s[20:21]                                   // 000000009640: BEFE0114
	global_atomic_pk_add_f16 v80, v65, s[8:9] offset:256       // 000000009644: DD388100 00084150
	s_mov_b64 exec, s[36:37]                                   // 00000000964C: BEFE0124
	s_mov_b64 exec, s[22:23]                                   // 000000009650: BEFE0116
	global_atomic_pk_add_f16 v82, v66, s[8:9]                  // 000000009654: DD388000 00084252
	s_mov_b64 exec, s[36:37]                                   // 00000000965C: BEFE0124
	s_mov_b64 exec, s[22:23]                                   // 000000009660: BEFE0116
	global_atomic_pk_add_f16 v82, v67, s[8:9] offset:256       // 000000009664: DD388100 00084352
	s_mov_b64 exec, s[36:37]                                   // 00000000966C: BEFE0124
	s_mov_b64 exec, s[24:25]                                   // 000000009670: BEFE0118
	global_atomic_pk_add_f16 v84, v68, s[8:9]                  // 000000009674: DD388000 00084454
	s_mov_b64 exec, s[36:37]                                   // 00000000967C: BEFE0124
	s_mov_b64 exec, s[24:25]                                   // 000000009680: BEFE0118
	global_atomic_pk_add_f16 v84, v69, s[8:9] offset:256       // 000000009684: DD388100 00084554
	s_mov_b64 exec, s[36:37]                                   // 00000000968C: BEFE0124
	s_mov_b64 exec, s[26:27]                                   // 000000009690: BEFE011A
	global_atomic_pk_add_f16 v86, v70, s[8:9]                  // 000000009694: DD388000 00084656
	s_mov_b64 exec, s[36:37]                                   // 00000000969C: BEFE0124
	s_mov_b64 exec, s[26:27]                                   // 0000000096A0: BEFE011A
	global_atomic_pk_add_f16 v86, v71, s[8:9] offset:256       // 0000000096A4: DD388100 00084756
	s_mov_b64 exec, s[36:37]                                   // 0000000096AC: BEFE0124
	s_mov_b64 exec, s[28:29]                                   // 0000000096B0: BEFE011C
	global_atomic_pk_add_f16 v88, v72, s[8:9]                  // 0000000096B4: DD388000 00084858
	s_mov_b64 exec, s[36:37]                                   // 0000000096BC: BEFE0124
	s_mov_b64 exec, s[28:29]                                   // 0000000096C0: BEFE011C
	global_atomic_pk_add_f16 v88, v73, s[8:9] offset:256       // 0000000096C4: DD388100 00084958
	s_mov_b64 exec, s[36:37]                                   // 0000000096CC: BEFE0124
	s_mov_b64 exec, s[30:31]                                   // 0000000096D0: BEFE011E
	global_atomic_pk_add_f16 v90, v74, s[8:9]                  // 0000000096D4: DD388000 00084A5A
	s_mov_b64 exec, s[36:37]                                   // 0000000096DC: BEFE0124
	s_mov_b64 exec, s[30:31]                                   // 0000000096E0: BEFE011E
	global_atomic_pk_add_f16 v90, v75, s[8:9] offset:256       // 0000000096E4: DD388100 00084B5A
	s_mov_b64 exec, s[36:37]                                   // 0000000096EC: BEFE0124
	s_mov_b64 exec, s[32:33]                                   // 0000000096F0: BEFE0120
	global_atomic_pk_add_f16 v92, v76, s[8:9]                  // 0000000096F4: DD388000 00084C5C
	s_mov_b64 exec, s[36:37]                                   // 0000000096FC: BEFE0124
	s_mov_b64 exec, s[32:33]                                   // 000000009700: BEFE0120
	global_atomic_pk_add_f16 v92, v77, s[8:9] offset:256       // 000000009704: DD388100 00084D5C
	s_mov_b64 exec, s[36:37]                                   // 00000000970C: BEFE0124
	s_mov_b64 exec, s[34:35]                                   // 000000009710: BEFE0122
	global_atomic_pk_add_f16 v94, v78, s[8:9]                  // 000000009714: DD388000 00084E5E
	s_mov_b64 exec, s[36:37]                                   // 00000000971C: BEFE0124
	s_mov_b64 exec, s[34:35]                                   // 000000009720: BEFE0122
	global_atomic_pk_add_f16 v94, v79, s[8:9] offset:256       // 000000009724: DD388100 00084F5E
	s_mov_b64 exec, s[36:37]                                   // 00000000972C: BEFE0124
	s_add_u32 s8, s59, s8                                      // 000000009730: 8008083B
	s_addc_u32 s9, 0, s9                                       // 000000009734: 82090980
	s_addk_i32 s80, 0x100                                      // 000000009738: B7500100
	s_cmp_lt_i32 s80, s81                                      // 00000000973C: BF045150
	s_cbranch_scc0 label_0E94                                  // 000000009740: BF84F443
	s_branch label_165D                                        // 000000009744: BF82FC0B

0000000000009748 <label_1A52>:
	s_waitcnt vmcnt(0) expcnt(0) lgkmcnt(0)                    // 000000009748: BF8C0000
	s_add_u32 s100, s100, 1                                    // 00000000974C: 80648164
	s_cmp_eq_u32 s96, 0                                        // 000000009750: BF068060
	s_cbranch_scc0 label_0039                                  // 000000009754: BF84E5E3

0000000000009758 <label_1A56>:
	s_waitcnt vmcnt(0) expcnt(0) lgkmcnt(0)                    // 000000009758: BF8C0000
	s_endpgm                                                   // 00000000975C: BF810000
